;; amdgpu-corpus repo=LLNL/RAJAPerf kind=compiled arch=gfx1250 opt=O3
	.amdgcn_target "amdgcn-amd-amdhsa--gfx1250"
	.amdhsa_code_object_version 6
	.section	.text._ZN8rajaperf9polybench14poly_heat_3D_1ILm32ELm8ELm1EEEvPdS2_l,"axG",@progbits,_ZN8rajaperf9polybench14poly_heat_3D_1ILm32ELm8ELm1EEEvPdS2_l,comdat
	.protected	_ZN8rajaperf9polybench14poly_heat_3D_1ILm32ELm8ELm1EEEvPdS2_l ; -- Begin function _ZN8rajaperf9polybench14poly_heat_3D_1ILm32ELm8ELm1EEEvPdS2_l
	.globl	_ZN8rajaperf9polybench14poly_heat_3D_1ILm32ELm8ELm1EEEvPdS2_l
	.p2align	8
	.type	_ZN8rajaperf9polybench14poly_heat_3D_1ILm32ELm8ELm1EEEvPdS2_l,@function
_ZN8rajaperf9polybench14poly_heat_3D_1ILm32ELm8ELm1EEEvPdS2_l: ; @_ZN8rajaperf9polybench14poly_heat_3D_1ILm32ELm8ELm1EEEvPdS2_l
; %bb.0:
	s_bfe_u32 s2, ttmp6, 0x40014
	s_lshr_b32 s3, ttmp7, 16
	s_add_co_i32 s2, s2, 1
	s_bfe_u32 s5, ttmp6, 0x40010
	s_mul_i32 s2, s3, s2
	s_bfe_u32 s4, ttmp6, 0x40008
	s_and_b32 s6, ttmp7, 0xffff
	s_add_co_i32 s5, s5, 1
	s_add_co_i32 s4, s4, s2
	s_mul_i32 s2, s6, s5
	s_bfe_u32 s5, ttmp6, 0x40004
	s_getreg_b32 s7, hwreg(HW_REG_IB_STS2, 6, 4)
	s_add_co_i32 s5, s5, s2
	s_cmp_eq_u32 s7, 0
	v_bfe_u32 v1, v0, 10, 10
	s_cselect_b32 s6, s6, s5
	s_cselect_b32 s3, s3, s4
	s_bfe_u32 s2, ttmp6, 0x4000c
	s_and_b32 s4, ttmp6, 15
	s_add_co_i32 s2, s2, 1
	v_dual_mov_b32 v5, 0 :: v_dual_add_nc_u32 v4, 1, v1
	s_mul_i32 s2, ttmp9, s2
	s_mov_b32 s5, 0
	s_add_co_i32 s4, s4, s2
	s_cmp_eq_u32 s7, 0
	s_mov_b32 s7, s5
	s_cselect_b32 s2, ttmp9, s4
	s_lshl_b32 s6, s6, 3
	s_add_co_i32 s4, s3, 1
	v_add_nc_u64_e32 v[2:3], s[6:7], v[4:5]
	v_and_b32_e32 v0, 0x3ff, v0
	s_mov_b32 s3, s5
	s_load_b64 s[6:7], s[0:1], 0x10
	s_lshl_b64 s[8:9], s[2:3], 5
	s_delay_alu instid0(VALU_DEP_1) | instskip(NEXT) | instid1(VALU_DEP_3)
	v_add_nc_u32_e32 v4, 1, v0
	v_max_i64 v[6:7], s[4:5], v[2:3]
	s_delay_alu instid0(VALU_DEP_2) | instskip(SKIP_2) | instid1(VALU_DEP_1)
	v_add_nc_u64_e32 v[8:9], s[8:9], v[4:5]
	s_wait_kmcnt 0x0
	s_add_nc_u64 s[2:3], s[6:7], -1
	v_max_i64 v[6:7], v[6:7], v[8:9]
	s_delay_alu instid0(VALU_DEP_1)
	v_cmp_gt_i64_e32 vcc_lo, s[2:3], v[6:7]
	s_and_saveexec_b32 s2, vcc_lo
	s_cbranch_execz .LBB0_2
; %bb.1:
	s_mul_u64 s[10:11], s[6:7], s[4:5]
	s_load_b128 s[0:3], s[0:1], 0x0
	v_add_nc_u64_e32 v[6:7], s[10:11], v[2:3]
	s_add_nc_u64 s[4:5], s[4:5], 1
	v_mov_b32_e32 v1, v5
	v_mad_nc_u64_u32 v[12:13], s6, s4, v[2:3]
	s_mul_i32 s4, s7, s4
	s_mul_i32 s5, s6, s5
	s_delay_alu instid0(VALU_DEP_2) | instskip(SKIP_2) | instid1(VALU_DEP_4)
	v_add_nc_u64_e32 v[0:1], s[8:9], v[0:1]
	v_mad_nc_u64_u32 v[8:9], s6, v6, s[6:7]
	v_mul_u64_e32 v[10:11], s[6:7], v[6:7]
	v_add3_u32 v13, s5, s4, v13
	s_delay_alu instid0(VALU_DEP_1) | instskip(NEXT) | instid1(VALU_DEP_4)
	v_mul_u64_e32 v[12:13], s[6:7], v[12:13]
	v_mad_u32 v4, s7, v6, v9
	s_wait_kmcnt 0x0
	v_lshl_add_u64 v[14:15], v[0:1], 3, s[0:1]
	s_sub_nc_u64 s[0:1], s[10:11], s[6:7]
	s_delay_alu instid0(SALU_CYCLE_1) | instskip(NEXT) | instid1(VALU_DEP_1)
	v_add_nc_u64_e32 v[2:3], s[0:1], v[2:3]
	v_mul_u64_e32 v[2:3], s[6:7], v[2:3]
	s_delay_alu instid0(VALU_DEP_4) | instskip(SKIP_1) | instid1(VALU_DEP_1)
	v_mad_u32 v9, s6, v7, v4
	v_add_nc_u64_e32 v[4:5], -1, v[6:7]
	v_mul_u64_e32 v[16:17], s[6:7], v[4:5]
	v_lshl_add_u64 v[18:19], v[10:11], 3, v[14:15]
	v_add_nc_u64_e32 v[0:1], v[10:11], v[0:1]
	v_lshl_add_u64 v[8:9], v[8:9], 3, v[14:15]
	s_clause 0x1
	global_load_b64 v[20:21], v[8:9], off offset:8
	global_load_b128 v[4:7], v[18:19], off
	v_lshl_add_u64 v[0:1], v[0:1], 3, s[2:3]
	s_wait_xcnt 0x1
	v_lshl_add_u64 v[8:9], v[12:13], 3, v[14:15]
	v_lshl_add_u64 v[2:3], v[2:3], 3, v[14:15]
	;; [unrolled: 1-line block ×3, first 2 shown]
	s_clause 0x3
	global_load_b64 v[16:17], v[8:9], off offset:8
	global_load_b64 v[22:23], v[12:13], off offset:8
	;; [unrolled: 1-line block ×4, first 2 shown]
	s_wait_loadcnt 0x4
	v_fmac_f64_e32 v[20:21], -2.0, v[6:7]
	s_wait_loadcnt 0x3
	v_fmac_f64_e32 v[16:17], -2.0, v[6:7]
	;; [unrolled: 2-line block ×3, first 2 shown]
	s_delay_alu instid0(VALU_DEP_3) | instskip(NEXT) | instid1(VALU_DEP_3)
	v_add_f64_e32 v[2:3], v[20:21], v[22:23]
	v_add_f64_e32 v[8:9], v[8:9], v[16:17]
	s_delay_alu instid0(VALU_DEP_3) | instskip(NEXT) | instid1(VALU_DEP_3)
	v_add_f64_e32 v[4:5], v[12:13], v[4:5]
	v_ldexp_f64 v[2:3], v[2:3], -3
	s_delay_alu instid0(VALU_DEP_1) | instskip(NEXT) | instid1(VALU_DEP_1)
	v_fmac_f64_e32 v[2:3], 0x3fc00000, v[8:9]
	v_fmac_f64_e32 v[2:3], 0x3fc00000, v[4:5]
	s_delay_alu instid0(VALU_DEP_1)
	v_add_f64_e32 v[2:3], v[6:7], v[2:3]
	global_store_b64 v[0:1], v[2:3], off offset:8
.LBB0_2:
	s_endpgm
	.section	.rodata,"a",@progbits
	.p2align	6, 0x0
	.amdhsa_kernel _ZN8rajaperf9polybench14poly_heat_3D_1ILm32ELm8ELm1EEEvPdS2_l
		.amdhsa_group_segment_fixed_size 0
		.amdhsa_private_segment_fixed_size 0
		.amdhsa_kernarg_size 24
		.amdhsa_user_sgpr_count 2
		.amdhsa_user_sgpr_dispatch_ptr 0
		.amdhsa_user_sgpr_queue_ptr 0
		.amdhsa_user_sgpr_kernarg_segment_ptr 1
		.amdhsa_user_sgpr_dispatch_id 0
		.amdhsa_user_sgpr_kernarg_preload_length 0
		.amdhsa_user_sgpr_kernarg_preload_offset 0
		.amdhsa_user_sgpr_private_segment_size 0
		.amdhsa_wavefront_size32 1
		.amdhsa_uses_dynamic_stack 0
		.amdhsa_enable_private_segment 0
		.amdhsa_system_sgpr_workgroup_id_x 1
		.amdhsa_system_sgpr_workgroup_id_y 1
		.amdhsa_system_sgpr_workgroup_id_z 1
		.amdhsa_system_sgpr_workgroup_info 0
		.amdhsa_system_vgpr_workitem_id 1
		.amdhsa_next_free_vgpr 24
		.amdhsa_next_free_sgpr 12
		.amdhsa_named_barrier_count 0
		.amdhsa_reserve_vcc 1
		.amdhsa_float_round_mode_32 0
		.amdhsa_float_round_mode_16_64 0
		.amdhsa_float_denorm_mode_32 3
		.amdhsa_float_denorm_mode_16_64 3
		.amdhsa_fp16_overflow 0
		.amdhsa_memory_ordered 1
		.amdhsa_forward_progress 1
		.amdhsa_inst_pref_size 5
		.amdhsa_round_robin_scheduling 0
		.amdhsa_exception_fp_ieee_invalid_op 0
		.amdhsa_exception_fp_denorm_src 0
		.amdhsa_exception_fp_ieee_div_zero 0
		.amdhsa_exception_fp_ieee_overflow 0
		.amdhsa_exception_fp_ieee_underflow 0
		.amdhsa_exception_fp_ieee_inexact 0
		.amdhsa_exception_int_div_zero 0
	.end_amdhsa_kernel
	.section	.text._ZN8rajaperf9polybench14poly_heat_3D_1ILm32ELm8ELm1EEEvPdS2_l,"axG",@progbits,_ZN8rajaperf9polybench14poly_heat_3D_1ILm32ELm8ELm1EEEvPdS2_l,comdat
.Lfunc_end0:
	.size	_ZN8rajaperf9polybench14poly_heat_3D_1ILm32ELm8ELm1EEEvPdS2_l, .Lfunc_end0-_ZN8rajaperf9polybench14poly_heat_3D_1ILm32ELm8ELm1EEEvPdS2_l
                                        ; -- End function
	.set _ZN8rajaperf9polybench14poly_heat_3D_1ILm32ELm8ELm1EEEvPdS2_l.num_vgpr, 24
	.set _ZN8rajaperf9polybench14poly_heat_3D_1ILm32ELm8ELm1EEEvPdS2_l.num_agpr, 0
	.set _ZN8rajaperf9polybench14poly_heat_3D_1ILm32ELm8ELm1EEEvPdS2_l.numbered_sgpr, 12
	.set _ZN8rajaperf9polybench14poly_heat_3D_1ILm32ELm8ELm1EEEvPdS2_l.num_named_barrier, 0
	.set _ZN8rajaperf9polybench14poly_heat_3D_1ILm32ELm8ELm1EEEvPdS2_l.private_seg_size, 0
	.set _ZN8rajaperf9polybench14poly_heat_3D_1ILm32ELm8ELm1EEEvPdS2_l.uses_vcc, 1
	.set _ZN8rajaperf9polybench14poly_heat_3D_1ILm32ELm8ELm1EEEvPdS2_l.uses_flat_scratch, 0
	.set _ZN8rajaperf9polybench14poly_heat_3D_1ILm32ELm8ELm1EEEvPdS2_l.has_dyn_sized_stack, 0
	.set _ZN8rajaperf9polybench14poly_heat_3D_1ILm32ELm8ELm1EEEvPdS2_l.has_recursion, 0
	.set _ZN8rajaperf9polybench14poly_heat_3D_1ILm32ELm8ELm1EEEvPdS2_l.has_indirect_call, 0
	.section	.AMDGPU.csdata,"",@progbits
; Kernel info:
; codeLenInByte = 596
; TotalNumSgprs: 14
; NumVgprs: 24
; ScratchSize: 0
; MemoryBound: 0
; FloatMode: 240
; IeeeMode: 1
; LDSByteSize: 0 bytes/workgroup (compile time only)
; SGPRBlocks: 0
; VGPRBlocks: 1
; NumSGPRsForWavesPerEU: 14
; NumVGPRsForWavesPerEU: 24
; NamedBarCnt: 0
; Occupancy: 16
; WaveLimiterHint : 0
; COMPUTE_PGM_RSRC2:SCRATCH_EN: 0
; COMPUTE_PGM_RSRC2:USER_SGPR: 2
; COMPUTE_PGM_RSRC2:TRAP_HANDLER: 0
; COMPUTE_PGM_RSRC2:TGID_X_EN: 1
; COMPUTE_PGM_RSRC2:TGID_Y_EN: 1
; COMPUTE_PGM_RSRC2:TGID_Z_EN: 1
; COMPUTE_PGM_RSRC2:TIDIG_COMP_CNT: 1
	.section	.text._ZN8rajaperf9polybench14poly_heat_3D_2ILm32ELm8ELm1EEEvPdS2_l,"axG",@progbits,_ZN8rajaperf9polybench14poly_heat_3D_2ILm32ELm8ELm1EEEvPdS2_l,comdat
	.protected	_ZN8rajaperf9polybench14poly_heat_3D_2ILm32ELm8ELm1EEEvPdS2_l ; -- Begin function _ZN8rajaperf9polybench14poly_heat_3D_2ILm32ELm8ELm1EEEvPdS2_l
	.globl	_ZN8rajaperf9polybench14poly_heat_3D_2ILm32ELm8ELm1EEEvPdS2_l
	.p2align	8
	.type	_ZN8rajaperf9polybench14poly_heat_3D_2ILm32ELm8ELm1EEEvPdS2_l,@function
_ZN8rajaperf9polybench14poly_heat_3D_2ILm32ELm8ELm1EEEvPdS2_l: ; @_ZN8rajaperf9polybench14poly_heat_3D_2ILm32ELm8ELm1EEEvPdS2_l
; %bb.0:
	s_bfe_u32 s2, ttmp6, 0x40014
	s_lshr_b32 s3, ttmp7, 16
	s_add_co_i32 s2, s2, 1
	s_bfe_u32 s5, ttmp6, 0x40010
	s_mul_i32 s2, s3, s2
	s_bfe_u32 s4, ttmp6, 0x40008
	s_and_b32 s6, ttmp7, 0xffff
	s_add_co_i32 s5, s5, 1
	s_add_co_i32 s4, s4, s2
	s_mul_i32 s2, s6, s5
	s_bfe_u32 s5, ttmp6, 0x40004
	s_getreg_b32 s7, hwreg(HW_REG_IB_STS2, 6, 4)
	s_add_co_i32 s5, s5, s2
	s_cmp_eq_u32 s7, 0
	v_bfe_u32 v1, v0, 10, 10
	s_cselect_b32 s6, s6, s5
	s_cselect_b32 s3, s3, s4
	s_bfe_u32 s2, ttmp6, 0x4000c
	s_and_b32 s4, ttmp6, 15
	s_add_co_i32 s2, s2, 1
	v_dual_mov_b32 v5, 0 :: v_dual_add_nc_u32 v4, 1, v1
	s_mul_i32 s2, ttmp9, s2
	s_mov_b32 s5, 0
	s_add_co_i32 s4, s4, s2
	s_cmp_eq_u32 s7, 0
	s_mov_b32 s7, s5
	s_cselect_b32 s2, ttmp9, s4
	s_lshl_b32 s6, s6, 3
	s_add_co_i32 s4, s3, 1
	v_add_nc_u64_e32 v[2:3], s[6:7], v[4:5]
	v_and_b32_e32 v0, 0x3ff, v0
	s_mov_b32 s3, s5
	s_load_b64 s[6:7], s[0:1], 0x10
	s_lshl_b64 s[8:9], s[2:3], 5
	s_delay_alu instid0(VALU_DEP_1) | instskip(NEXT) | instid1(VALU_DEP_3)
	v_add_nc_u32_e32 v4, 1, v0
	v_max_i64 v[6:7], s[4:5], v[2:3]
	s_delay_alu instid0(VALU_DEP_2) | instskip(SKIP_2) | instid1(VALU_DEP_1)
	v_add_nc_u64_e32 v[8:9], s[8:9], v[4:5]
	s_wait_kmcnt 0x0
	s_add_nc_u64 s[2:3], s[6:7], -1
	v_max_i64 v[6:7], v[6:7], v[8:9]
	s_delay_alu instid0(VALU_DEP_1)
	v_cmp_gt_i64_e32 vcc_lo, s[2:3], v[6:7]
	s_and_saveexec_b32 s2, vcc_lo
	s_cbranch_execz .LBB1_2
; %bb.1:
	s_mul_u64 s[10:11], s[6:7], s[4:5]
	s_load_b128 s[0:3], s[0:1], 0x0
	v_add_nc_u64_e32 v[6:7], s[10:11], v[2:3]
	s_add_nc_u64 s[4:5], s[4:5], 1
	v_mov_b32_e32 v1, v5
	v_mad_nc_u64_u32 v[12:13], s6, s4, v[2:3]
	s_mul_i32 s4, s7, s4
	s_mul_i32 s5, s6, s5
	s_delay_alu instid0(VALU_DEP_2) | instskip(SKIP_2) | instid1(VALU_DEP_4)
	v_add_nc_u64_e32 v[0:1], s[8:9], v[0:1]
	v_mad_nc_u64_u32 v[8:9], s6, v6, s[6:7]
	v_mul_u64_e32 v[10:11], s[6:7], v[6:7]
	v_add3_u32 v13, s5, s4, v13
	s_delay_alu instid0(VALU_DEP_1) | instskip(NEXT) | instid1(VALU_DEP_4)
	v_mul_u64_e32 v[12:13], s[6:7], v[12:13]
	v_mad_u32 v4, s7, v6, v9
	s_wait_kmcnt 0x0
	v_lshl_add_u64 v[14:15], v[0:1], 3, s[2:3]
	s_sub_nc_u64 s[2:3], s[10:11], s[6:7]
	s_delay_alu instid0(SALU_CYCLE_1) | instskip(NEXT) | instid1(VALU_DEP_1)
	v_add_nc_u64_e32 v[2:3], s[2:3], v[2:3]
	v_mul_u64_e32 v[2:3], s[6:7], v[2:3]
	s_delay_alu instid0(VALU_DEP_4) | instskip(SKIP_1) | instid1(VALU_DEP_1)
	v_mad_u32 v9, s6, v7, v4
	v_add_nc_u64_e32 v[4:5], -1, v[6:7]
	v_mul_u64_e32 v[16:17], s[6:7], v[4:5]
	v_lshl_add_u64 v[18:19], v[10:11], 3, v[14:15]
	v_add_nc_u64_e32 v[0:1], v[10:11], v[0:1]
	v_lshl_add_u64 v[8:9], v[8:9], 3, v[14:15]
	s_clause 0x1
	global_load_b64 v[20:21], v[8:9], off offset:8
	global_load_b128 v[4:7], v[18:19], off
	v_lshl_add_u64 v[0:1], v[0:1], 3, s[0:1]
	s_wait_xcnt 0x1
	v_lshl_add_u64 v[8:9], v[12:13], 3, v[14:15]
	v_lshl_add_u64 v[2:3], v[2:3], 3, v[14:15]
	;; [unrolled: 1-line block ×3, first 2 shown]
	s_clause 0x3
	global_load_b64 v[16:17], v[8:9], off offset:8
	global_load_b64 v[22:23], v[12:13], off offset:8
	;; [unrolled: 1-line block ×4, first 2 shown]
	s_wait_loadcnt 0x4
	v_fmac_f64_e32 v[20:21], -2.0, v[6:7]
	s_wait_loadcnt 0x3
	v_fmac_f64_e32 v[16:17], -2.0, v[6:7]
	;; [unrolled: 2-line block ×3, first 2 shown]
	s_delay_alu instid0(VALU_DEP_3) | instskip(NEXT) | instid1(VALU_DEP_3)
	v_add_f64_e32 v[2:3], v[20:21], v[22:23]
	v_add_f64_e32 v[8:9], v[8:9], v[16:17]
	s_delay_alu instid0(VALU_DEP_3) | instskip(NEXT) | instid1(VALU_DEP_3)
	v_add_f64_e32 v[4:5], v[12:13], v[4:5]
	v_ldexp_f64 v[2:3], v[2:3], -3
	s_delay_alu instid0(VALU_DEP_1) | instskip(NEXT) | instid1(VALU_DEP_1)
	v_fmac_f64_e32 v[2:3], 0x3fc00000, v[8:9]
	v_fmac_f64_e32 v[2:3], 0x3fc00000, v[4:5]
	s_delay_alu instid0(VALU_DEP_1)
	v_add_f64_e32 v[2:3], v[6:7], v[2:3]
	global_store_b64 v[0:1], v[2:3], off offset:8
.LBB1_2:
	s_endpgm
	.section	.rodata,"a",@progbits
	.p2align	6, 0x0
	.amdhsa_kernel _ZN8rajaperf9polybench14poly_heat_3D_2ILm32ELm8ELm1EEEvPdS2_l
		.amdhsa_group_segment_fixed_size 0
		.amdhsa_private_segment_fixed_size 0
		.amdhsa_kernarg_size 24
		.amdhsa_user_sgpr_count 2
		.amdhsa_user_sgpr_dispatch_ptr 0
		.amdhsa_user_sgpr_queue_ptr 0
		.amdhsa_user_sgpr_kernarg_segment_ptr 1
		.amdhsa_user_sgpr_dispatch_id 0
		.amdhsa_user_sgpr_kernarg_preload_length 0
		.amdhsa_user_sgpr_kernarg_preload_offset 0
		.amdhsa_user_sgpr_private_segment_size 0
		.amdhsa_wavefront_size32 1
		.amdhsa_uses_dynamic_stack 0
		.amdhsa_enable_private_segment 0
		.amdhsa_system_sgpr_workgroup_id_x 1
		.amdhsa_system_sgpr_workgroup_id_y 1
		.amdhsa_system_sgpr_workgroup_id_z 1
		.amdhsa_system_sgpr_workgroup_info 0
		.amdhsa_system_vgpr_workitem_id 1
		.amdhsa_next_free_vgpr 24
		.amdhsa_next_free_sgpr 12
		.amdhsa_named_barrier_count 0
		.amdhsa_reserve_vcc 1
		.amdhsa_float_round_mode_32 0
		.amdhsa_float_round_mode_16_64 0
		.amdhsa_float_denorm_mode_32 3
		.amdhsa_float_denorm_mode_16_64 3
		.amdhsa_fp16_overflow 0
		.amdhsa_memory_ordered 1
		.amdhsa_forward_progress 1
		.amdhsa_inst_pref_size 5
		.amdhsa_round_robin_scheduling 0
		.amdhsa_exception_fp_ieee_invalid_op 0
		.amdhsa_exception_fp_denorm_src 0
		.amdhsa_exception_fp_ieee_div_zero 0
		.amdhsa_exception_fp_ieee_overflow 0
		.amdhsa_exception_fp_ieee_underflow 0
		.amdhsa_exception_fp_ieee_inexact 0
		.amdhsa_exception_int_div_zero 0
	.end_amdhsa_kernel
	.section	.text._ZN8rajaperf9polybench14poly_heat_3D_2ILm32ELm8ELm1EEEvPdS2_l,"axG",@progbits,_ZN8rajaperf9polybench14poly_heat_3D_2ILm32ELm8ELm1EEEvPdS2_l,comdat
.Lfunc_end1:
	.size	_ZN8rajaperf9polybench14poly_heat_3D_2ILm32ELm8ELm1EEEvPdS2_l, .Lfunc_end1-_ZN8rajaperf9polybench14poly_heat_3D_2ILm32ELm8ELm1EEEvPdS2_l
                                        ; -- End function
	.set _ZN8rajaperf9polybench14poly_heat_3D_2ILm32ELm8ELm1EEEvPdS2_l.num_vgpr, 24
	.set _ZN8rajaperf9polybench14poly_heat_3D_2ILm32ELm8ELm1EEEvPdS2_l.num_agpr, 0
	.set _ZN8rajaperf9polybench14poly_heat_3D_2ILm32ELm8ELm1EEEvPdS2_l.numbered_sgpr, 12
	.set _ZN8rajaperf9polybench14poly_heat_3D_2ILm32ELm8ELm1EEEvPdS2_l.num_named_barrier, 0
	.set _ZN8rajaperf9polybench14poly_heat_3D_2ILm32ELm8ELm1EEEvPdS2_l.private_seg_size, 0
	.set _ZN8rajaperf9polybench14poly_heat_3D_2ILm32ELm8ELm1EEEvPdS2_l.uses_vcc, 1
	.set _ZN8rajaperf9polybench14poly_heat_3D_2ILm32ELm8ELm1EEEvPdS2_l.uses_flat_scratch, 0
	.set _ZN8rajaperf9polybench14poly_heat_3D_2ILm32ELm8ELm1EEEvPdS2_l.has_dyn_sized_stack, 0
	.set _ZN8rajaperf9polybench14poly_heat_3D_2ILm32ELm8ELm1EEEvPdS2_l.has_recursion, 0
	.set _ZN8rajaperf9polybench14poly_heat_3D_2ILm32ELm8ELm1EEEvPdS2_l.has_indirect_call, 0
	.section	.AMDGPU.csdata,"",@progbits
; Kernel info:
; codeLenInByte = 596
; TotalNumSgprs: 14
; NumVgprs: 24
; ScratchSize: 0
; MemoryBound: 0
; FloatMode: 240
; IeeeMode: 1
; LDSByteSize: 0 bytes/workgroup (compile time only)
; SGPRBlocks: 0
; VGPRBlocks: 1
; NumSGPRsForWavesPerEU: 14
; NumVGPRsForWavesPerEU: 24
; NamedBarCnt: 0
; Occupancy: 16
; WaveLimiterHint : 0
; COMPUTE_PGM_RSRC2:SCRATCH_EN: 0
; COMPUTE_PGM_RSRC2:USER_SGPR: 2
; COMPUTE_PGM_RSRC2:TRAP_HANDLER: 0
; COMPUTE_PGM_RSRC2:TGID_X_EN: 1
; COMPUTE_PGM_RSRC2:TGID_Y_EN: 1
; COMPUTE_PGM_RSRC2:TGID_Z_EN: 1
; COMPUTE_PGM_RSRC2:TIDIG_COMP_CNT: 1
	.section	.text._ZN8rajaperf9polybench16poly_heat_3D_lamILm32ELm8ELm1EZNS0_17POLYBENCH_HEAT_3D17runHipVariantImplILm256EEEvNS_9VariantIDEEUllllE_EEvlT2_,"axG",@progbits,_ZN8rajaperf9polybench16poly_heat_3D_lamILm32ELm8ELm1EZNS0_17POLYBENCH_HEAT_3D17runHipVariantImplILm256EEEvNS_9VariantIDEEUllllE_EEvlT2_,comdat
	.protected	_ZN8rajaperf9polybench16poly_heat_3D_lamILm32ELm8ELm1EZNS0_17POLYBENCH_HEAT_3D17runHipVariantImplILm256EEEvNS_9VariantIDEEUllllE_EEvlT2_ ; -- Begin function _ZN8rajaperf9polybench16poly_heat_3D_lamILm32ELm8ELm1EZNS0_17POLYBENCH_HEAT_3D17runHipVariantImplILm256EEEvNS_9VariantIDEEUllllE_EEvlT2_
	.globl	_ZN8rajaperf9polybench16poly_heat_3D_lamILm32ELm8ELm1EZNS0_17POLYBENCH_HEAT_3D17runHipVariantImplILm256EEEvNS_9VariantIDEEUllllE_EEvlT2_
	.p2align	8
	.type	_ZN8rajaperf9polybench16poly_heat_3D_lamILm32ELm8ELm1EZNS0_17POLYBENCH_HEAT_3D17runHipVariantImplILm256EEEvNS_9VariantIDEEUllllE_EEvlT2_,@function
_ZN8rajaperf9polybench16poly_heat_3D_lamILm32ELm8ELm1EZNS0_17POLYBENCH_HEAT_3D17runHipVariantImplILm256EEEvNS_9VariantIDEEUllllE_EEvlT2_: ; @_ZN8rajaperf9polybench16poly_heat_3D_lamILm32ELm8ELm1EZNS0_17POLYBENCH_HEAT_3D17runHipVariantImplILm256EEEvNS_9VariantIDEEUllllE_EEvlT2_
; %bb.0:
	s_bfe_u32 s2, ttmp6, 0x40014
	s_lshr_b32 s3, ttmp7, 16
	s_add_co_i32 s2, s2, 1
	s_bfe_u32 s5, ttmp6, 0x40010
	s_mul_i32 s2, s3, s2
	s_bfe_u32 s4, ttmp6, 0x40008
	s_and_b32 s6, ttmp7, 0xffff
	s_add_co_i32 s5, s5, 1
	s_add_co_i32 s4, s4, s2
	s_mul_i32 s2, s6, s5
	s_bfe_u32 s5, ttmp6, 0x40004
	s_getreg_b32 s7, hwreg(HW_REG_IB_STS2, 6, 4)
	s_add_co_i32 s5, s5, s2
	s_cmp_eq_u32 s7, 0
	v_bfe_u32 v1, v0, 10, 10
	s_cselect_b32 s2, s6, s5
	s_cselect_b32 s5, s3, s4
	s_bfe_u32 s3, ttmp6, 0x4000c
	s_and_b32 s4, ttmp6, 15
	s_add_co_i32 s3, s3, 1
	v_dual_mov_b32 v5, 0 :: v_dual_add_nc_u32 v4, 1, v1
	s_mul_i32 s6, ttmp9, s3
	s_mov_b32 s3, 0
	s_add_co_i32 s4, s4, s6
	s_cmp_eq_u32 s7, 0
	s_mov_b32 s7, s3
	s_cselect_b32 s4, ttmp9, s4
	s_lshl_b32 s6, s2, 3
	s_add_co_i32 s2, s5, 1
	v_add_nc_u64_e32 v[2:3], s[6:7], v[4:5]
	v_and_b32_e32 v0, 0x3ff, v0
	s_mov_b32 s5, s3
	s_delay_alu instid0(SALU_CYCLE_1) | instskip(SKIP_1) | instid1(VALU_DEP_1)
	s_lshl_b64 s[8:9], s[4:5], 5
	s_load_b64 s[4:5], s[0:1], 0x0
	v_add_nc_u32_e32 v4, 1, v0
	s_delay_alu instid0(VALU_DEP_3) | instskip(NEXT) | instid1(VALU_DEP_2)
	v_max_i64 v[6:7], s[2:3], v[2:3]
	v_add_nc_u64_e32 v[8:9], s[8:9], v[4:5]
	s_wait_kmcnt 0x0
	s_add_nc_u64 s[4:5], s[4:5], -1
	s_delay_alu instid0(VALU_DEP_1) | instskip(NEXT) | instid1(VALU_DEP_1)
	v_max_i64 v[6:7], v[6:7], v[8:9]
	v_cmp_gt_i64_e32 vcc_lo, s[4:5], v[6:7]
	s_and_saveexec_b32 s4, vcc_lo
	s_cbranch_execz .LBB2_2
; %bb.1:
	s_clause 0x1
	s_load_b128 s[4:7], s[0:1], 0x8
	s_load_b64 s[10:11], s[0:1], 0x18
	v_mov_b32_e32 v1, v5
	s_delay_alu instid0(VALU_DEP_1)
	v_add_nc_u64_e32 v[0:1], s[8:9], v[0:1]
	s_wait_kmcnt 0x0
	s_mul_u64 s[0:1], s[6:7], s[2:3]
	s_add_nc_u64 s[2:3], s[2:3], 1
	v_add_nc_u64_e32 v[6:7], s[0:1], v[2:3]
	v_mad_nc_u64_u32 v[4:5], s6, s2, v[2:3]
	s_delay_alu instid0(VALU_DEP_3) | instskip(SKIP_3) | instid1(SALU_CYCLE_1)
	v_lshl_add_u64 v[10:11], v[0:1], 3, s[10:11]
	s_mul_i32 s2, s7, s2
	s_mul_i32 s3, s6, s3
	s_sub_nc_u64 s[0:1], s[0:1], s[6:7]
	v_add_nc_u64_e32 v[2:3], s[0:1], v[2:3]
	v_mul_u64_e32 v[8:9], s[6:7], v[6:7]
	s_lshl_b64 s[0:1], s[6:7], 1
	s_delay_alu instid0(VALU_DEP_4) | instskip(NEXT) | instid1(VALU_DEP_3)
	v_add3_u32 v5, s3, s2, v5
	v_mul_u64_e32 v[2:3], s[6:7], v[2:3]
	s_delay_alu instid0(VALU_DEP_2) | instskip(NEXT) | instid1(VALU_DEP_4)
	v_mul_u64_e32 v[14:15], s[6:7], v[4:5]
	v_lshl_add_u64 v[12:13], v[8:9], 3, v[10:11]
	v_add_nc_u64_e32 v[0:1], v[8:9], v[0:1]
	s_delay_alu instid0(VALU_DEP_2)
	v_lshl_add_u64 v[16:17], s[6:7], 3, v[12:13]
	v_lshl_add_u64 v[2:3], v[2:3], 3, v[10:11]
	s_clause 0x1
	global_load_b64 v[18:19], v[16:17], off offset:8
	global_load_b128 v[4:7], v[12:13], off
	s_wait_xcnt 0x1
	v_add_nc_u64_e32 v[16:17], s[6:7], v[8:9]
	v_lshl_add_u64 v[14:15], v[14:15], 3, v[10:11]
	v_lshl_add_u64 v[0:1], v[0:1], 3, s[4:5]
	s_delay_alu instid0(VALU_DEP_3) | instskip(NEXT) | instid1(VALU_DEP_1)
	v_sub_nc_u64_e64 v[16:17], v[16:17], s[0:1]
	v_lshl_add_u64 v[16:17], v[16:17], 3, v[10:11]
	s_clause 0x3
	global_load_b64 v[20:21], v[14:15], off offset:8
	global_load_b64 v[22:23], v[16:17], off offset:8
	;; [unrolled: 1-line block ×4, first 2 shown]
	s_wait_loadcnt 0x4
	v_fmac_f64_e32 v[18:19], -2.0, v[6:7]
	s_wait_loadcnt 0x3
	v_fmac_f64_e32 v[20:21], -2.0, v[6:7]
	;; [unrolled: 2-line block ×3, first 2 shown]
	s_delay_alu instid0(VALU_DEP_3) | instskip(NEXT) | instid1(VALU_DEP_3)
	v_add_f64_e32 v[2:3], v[18:19], v[22:23]
	v_add_f64_e32 v[10:11], v[10:11], v[20:21]
	s_delay_alu instid0(VALU_DEP_3) | instskip(NEXT) | instid1(VALU_DEP_3)
	v_add_f64_e32 v[4:5], v[14:15], v[4:5]
	v_ldexp_f64 v[2:3], v[2:3], -3
	s_delay_alu instid0(VALU_DEP_1) | instskip(NEXT) | instid1(VALU_DEP_1)
	v_fmac_f64_e32 v[2:3], 0x3fc00000, v[10:11]
	v_fmac_f64_e32 v[2:3], 0x3fc00000, v[4:5]
	s_delay_alu instid0(VALU_DEP_1)
	v_add_f64_e32 v[2:3], v[6:7], v[2:3]
	global_store_b64 v[0:1], v[2:3], off offset:8
.LBB2_2:
	s_endpgm
	.section	.rodata,"a",@progbits
	.p2align	6, 0x0
	.amdhsa_kernel _ZN8rajaperf9polybench16poly_heat_3D_lamILm32ELm8ELm1EZNS0_17POLYBENCH_HEAT_3D17runHipVariantImplILm256EEEvNS_9VariantIDEEUllllE_EEvlT2_
		.amdhsa_group_segment_fixed_size 0
		.amdhsa_private_segment_fixed_size 0
		.amdhsa_kernarg_size 32
		.amdhsa_user_sgpr_count 2
		.amdhsa_user_sgpr_dispatch_ptr 0
		.amdhsa_user_sgpr_queue_ptr 0
		.amdhsa_user_sgpr_kernarg_segment_ptr 1
		.amdhsa_user_sgpr_dispatch_id 0
		.amdhsa_user_sgpr_kernarg_preload_length 0
		.amdhsa_user_sgpr_kernarg_preload_offset 0
		.amdhsa_user_sgpr_private_segment_size 0
		.amdhsa_wavefront_size32 1
		.amdhsa_uses_dynamic_stack 0
		.amdhsa_enable_private_segment 0
		.amdhsa_system_sgpr_workgroup_id_x 1
		.amdhsa_system_sgpr_workgroup_id_y 1
		.amdhsa_system_sgpr_workgroup_id_z 1
		.amdhsa_system_sgpr_workgroup_info 0
		.amdhsa_system_vgpr_workitem_id 1
		.amdhsa_next_free_vgpr 24
		.amdhsa_next_free_sgpr 12
		.amdhsa_named_barrier_count 0
		.amdhsa_reserve_vcc 1
		.amdhsa_float_round_mode_32 0
		.amdhsa_float_round_mode_16_64 0
		.amdhsa_float_denorm_mode_32 3
		.amdhsa_float_denorm_mode_16_64 3
		.amdhsa_fp16_overflow 0
		.amdhsa_memory_ordered 1
		.amdhsa_forward_progress 1
		.amdhsa_inst_pref_size 5
		.amdhsa_round_robin_scheduling 0
		.amdhsa_exception_fp_ieee_invalid_op 0
		.amdhsa_exception_fp_denorm_src 0
		.amdhsa_exception_fp_ieee_div_zero 0
		.amdhsa_exception_fp_ieee_overflow 0
		.amdhsa_exception_fp_ieee_underflow 0
		.amdhsa_exception_fp_ieee_inexact 0
		.amdhsa_exception_int_div_zero 0
	.end_amdhsa_kernel
	.section	.text._ZN8rajaperf9polybench16poly_heat_3D_lamILm32ELm8ELm1EZNS0_17POLYBENCH_HEAT_3D17runHipVariantImplILm256EEEvNS_9VariantIDEEUllllE_EEvlT2_,"axG",@progbits,_ZN8rajaperf9polybench16poly_heat_3D_lamILm32ELm8ELm1EZNS0_17POLYBENCH_HEAT_3D17runHipVariantImplILm256EEEvNS_9VariantIDEEUllllE_EEvlT2_,comdat
.Lfunc_end2:
	.size	_ZN8rajaperf9polybench16poly_heat_3D_lamILm32ELm8ELm1EZNS0_17POLYBENCH_HEAT_3D17runHipVariantImplILm256EEEvNS_9VariantIDEEUllllE_EEvlT2_, .Lfunc_end2-_ZN8rajaperf9polybench16poly_heat_3D_lamILm32ELm8ELm1EZNS0_17POLYBENCH_HEAT_3D17runHipVariantImplILm256EEEvNS_9VariantIDEEUllllE_EEvlT2_
                                        ; -- End function
	.set _ZN8rajaperf9polybench16poly_heat_3D_lamILm32ELm8ELm1EZNS0_17POLYBENCH_HEAT_3D17runHipVariantImplILm256EEEvNS_9VariantIDEEUllllE_EEvlT2_.num_vgpr, 24
	.set _ZN8rajaperf9polybench16poly_heat_3D_lamILm32ELm8ELm1EZNS0_17POLYBENCH_HEAT_3D17runHipVariantImplILm256EEEvNS_9VariantIDEEUllllE_EEvlT2_.num_agpr, 0
	.set _ZN8rajaperf9polybench16poly_heat_3D_lamILm32ELm8ELm1EZNS0_17POLYBENCH_HEAT_3D17runHipVariantImplILm256EEEvNS_9VariantIDEEUllllE_EEvlT2_.numbered_sgpr, 12
	.set _ZN8rajaperf9polybench16poly_heat_3D_lamILm32ELm8ELm1EZNS0_17POLYBENCH_HEAT_3D17runHipVariantImplILm256EEEvNS_9VariantIDEEUllllE_EEvlT2_.num_named_barrier, 0
	.set _ZN8rajaperf9polybench16poly_heat_3D_lamILm32ELm8ELm1EZNS0_17POLYBENCH_HEAT_3D17runHipVariantImplILm256EEEvNS_9VariantIDEEUllllE_EEvlT2_.private_seg_size, 0
	.set _ZN8rajaperf9polybench16poly_heat_3D_lamILm32ELm8ELm1EZNS0_17POLYBENCH_HEAT_3D17runHipVariantImplILm256EEEvNS_9VariantIDEEUllllE_EEvlT2_.uses_vcc, 1
	.set _ZN8rajaperf9polybench16poly_heat_3D_lamILm32ELm8ELm1EZNS0_17POLYBENCH_HEAT_3D17runHipVariantImplILm256EEEvNS_9VariantIDEEUllllE_EEvlT2_.uses_flat_scratch, 0
	.set _ZN8rajaperf9polybench16poly_heat_3D_lamILm32ELm8ELm1EZNS0_17POLYBENCH_HEAT_3D17runHipVariantImplILm256EEEvNS_9VariantIDEEUllllE_EEvlT2_.has_dyn_sized_stack, 0
	.set _ZN8rajaperf9polybench16poly_heat_3D_lamILm32ELm8ELm1EZNS0_17POLYBENCH_HEAT_3D17runHipVariantImplILm256EEEvNS_9VariantIDEEUllllE_EEvlT2_.has_recursion, 0
	.set _ZN8rajaperf9polybench16poly_heat_3D_lamILm32ELm8ELm1EZNS0_17POLYBENCH_HEAT_3D17runHipVariantImplILm256EEEvNS_9VariantIDEEUllllE_EEvlT2_.has_indirect_call, 0
	.section	.AMDGPU.csdata,"",@progbits
; Kernel info:
; codeLenInByte = 600
; TotalNumSgprs: 14
; NumVgprs: 24
; ScratchSize: 0
; MemoryBound: 0
; FloatMode: 240
; IeeeMode: 1
; LDSByteSize: 0 bytes/workgroup (compile time only)
; SGPRBlocks: 0
; VGPRBlocks: 1
; NumSGPRsForWavesPerEU: 14
; NumVGPRsForWavesPerEU: 24
; NamedBarCnt: 0
; Occupancy: 16
; WaveLimiterHint : 0
; COMPUTE_PGM_RSRC2:SCRATCH_EN: 0
; COMPUTE_PGM_RSRC2:USER_SGPR: 2
; COMPUTE_PGM_RSRC2:TRAP_HANDLER: 0
; COMPUTE_PGM_RSRC2:TGID_X_EN: 1
; COMPUTE_PGM_RSRC2:TGID_Y_EN: 1
; COMPUTE_PGM_RSRC2:TGID_Z_EN: 1
; COMPUTE_PGM_RSRC2:TIDIG_COMP_CNT: 1
	.section	.text._ZN8rajaperf9polybench16poly_heat_3D_lamILm32ELm8ELm1EZNS0_17POLYBENCH_HEAT_3D17runHipVariantImplILm256EEEvNS_9VariantIDEEUllllE0_EEvlT2_,"axG",@progbits,_ZN8rajaperf9polybench16poly_heat_3D_lamILm32ELm8ELm1EZNS0_17POLYBENCH_HEAT_3D17runHipVariantImplILm256EEEvNS_9VariantIDEEUllllE0_EEvlT2_,comdat
	.protected	_ZN8rajaperf9polybench16poly_heat_3D_lamILm32ELm8ELm1EZNS0_17POLYBENCH_HEAT_3D17runHipVariantImplILm256EEEvNS_9VariantIDEEUllllE0_EEvlT2_ ; -- Begin function _ZN8rajaperf9polybench16poly_heat_3D_lamILm32ELm8ELm1EZNS0_17POLYBENCH_HEAT_3D17runHipVariantImplILm256EEEvNS_9VariantIDEEUllllE0_EEvlT2_
	.globl	_ZN8rajaperf9polybench16poly_heat_3D_lamILm32ELm8ELm1EZNS0_17POLYBENCH_HEAT_3D17runHipVariantImplILm256EEEvNS_9VariantIDEEUllllE0_EEvlT2_
	.p2align	8
	.type	_ZN8rajaperf9polybench16poly_heat_3D_lamILm32ELm8ELm1EZNS0_17POLYBENCH_HEAT_3D17runHipVariantImplILm256EEEvNS_9VariantIDEEUllllE0_EEvlT2_,@function
_ZN8rajaperf9polybench16poly_heat_3D_lamILm32ELm8ELm1EZNS0_17POLYBENCH_HEAT_3D17runHipVariantImplILm256EEEvNS_9VariantIDEEUllllE0_EEvlT2_: ; @_ZN8rajaperf9polybench16poly_heat_3D_lamILm32ELm8ELm1EZNS0_17POLYBENCH_HEAT_3D17runHipVariantImplILm256EEEvNS_9VariantIDEEUllllE0_EEvlT2_
; %bb.0:
	s_bfe_u32 s2, ttmp6, 0x40014
	s_lshr_b32 s3, ttmp7, 16
	s_add_co_i32 s2, s2, 1
	s_bfe_u32 s5, ttmp6, 0x40010
	s_mul_i32 s2, s3, s2
	s_bfe_u32 s4, ttmp6, 0x40008
	s_and_b32 s6, ttmp7, 0xffff
	s_add_co_i32 s5, s5, 1
	s_add_co_i32 s4, s4, s2
	s_mul_i32 s2, s6, s5
	s_bfe_u32 s5, ttmp6, 0x40004
	s_getreg_b32 s7, hwreg(HW_REG_IB_STS2, 6, 4)
	s_add_co_i32 s5, s5, s2
	s_cmp_eq_u32 s7, 0
	v_bfe_u32 v1, v0, 10, 10
	s_cselect_b32 s2, s6, s5
	s_cselect_b32 s5, s3, s4
	s_bfe_u32 s3, ttmp6, 0x4000c
	s_and_b32 s4, ttmp6, 15
	s_add_co_i32 s3, s3, 1
	v_dual_mov_b32 v5, 0 :: v_dual_add_nc_u32 v4, 1, v1
	s_mul_i32 s6, ttmp9, s3
	s_mov_b32 s3, 0
	s_add_co_i32 s4, s4, s6
	s_cmp_eq_u32 s7, 0
	s_mov_b32 s7, s3
	s_cselect_b32 s4, ttmp9, s4
	s_lshl_b32 s6, s2, 3
	s_add_co_i32 s2, s5, 1
	v_add_nc_u64_e32 v[2:3], s[6:7], v[4:5]
	v_and_b32_e32 v0, 0x3ff, v0
	s_mov_b32 s5, s3
	s_delay_alu instid0(SALU_CYCLE_1) | instskip(SKIP_1) | instid1(VALU_DEP_1)
	s_lshl_b64 s[8:9], s[4:5], 5
	s_load_b64 s[4:5], s[0:1], 0x0
	v_add_nc_u32_e32 v4, 1, v0
	s_delay_alu instid0(VALU_DEP_3) | instskip(NEXT) | instid1(VALU_DEP_2)
	v_max_i64 v[6:7], s[2:3], v[2:3]
	v_add_nc_u64_e32 v[8:9], s[8:9], v[4:5]
	s_wait_kmcnt 0x0
	s_add_nc_u64 s[4:5], s[4:5], -1
	s_delay_alu instid0(VALU_DEP_1) | instskip(NEXT) | instid1(VALU_DEP_1)
	v_max_i64 v[6:7], v[6:7], v[8:9]
	v_cmp_gt_i64_e32 vcc_lo, s[4:5], v[6:7]
	s_and_saveexec_b32 s4, vcc_lo
	s_cbranch_execz .LBB3_2
; %bb.1:
	s_clause 0x1
	s_load_b128 s[4:7], s[0:1], 0x8
	s_load_b64 s[10:11], s[0:1], 0x18
	v_mov_b32_e32 v1, v5
	s_delay_alu instid0(VALU_DEP_1)
	v_add_nc_u64_e32 v[0:1], s[8:9], v[0:1]
	s_wait_kmcnt 0x0
	s_mul_u64 s[0:1], s[6:7], s[2:3]
	s_add_nc_u64 s[2:3], s[2:3], 1
	v_add_nc_u64_e32 v[6:7], s[0:1], v[2:3]
	v_mad_nc_u64_u32 v[4:5], s6, s2, v[2:3]
	s_delay_alu instid0(VALU_DEP_3) | instskip(SKIP_3) | instid1(SALU_CYCLE_1)
	v_lshl_add_u64 v[10:11], v[0:1], 3, s[10:11]
	s_mul_i32 s2, s7, s2
	s_mul_i32 s3, s6, s3
	s_sub_nc_u64 s[0:1], s[0:1], s[6:7]
	v_add_nc_u64_e32 v[2:3], s[0:1], v[2:3]
	v_mul_u64_e32 v[8:9], s[6:7], v[6:7]
	s_lshl_b64 s[0:1], s[6:7], 1
	s_delay_alu instid0(VALU_DEP_4) | instskip(NEXT) | instid1(VALU_DEP_3)
	v_add3_u32 v5, s3, s2, v5
	v_mul_u64_e32 v[2:3], s[6:7], v[2:3]
	s_delay_alu instid0(VALU_DEP_2) | instskip(NEXT) | instid1(VALU_DEP_4)
	v_mul_u64_e32 v[14:15], s[6:7], v[4:5]
	v_lshl_add_u64 v[12:13], v[8:9], 3, v[10:11]
	v_add_nc_u64_e32 v[0:1], v[8:9], v[0:1]
	s_delay_alu instid0(VALU_DEP_2)
	v_lshl_add_u64 v[16:17], s[6:7], 3, v[12:13]
	v_lshl_add_u64 v[2:3], v[2:3], 3, v[10:11]
	s_clause 0x1
	global_load_b64 v[18:19], v[16:17], off offset:8
	global_load_b128 v[4:7], v[12:13], off
	s_wait_xcnt 0x1
	v_add_nc_u64_e32 v[16:17], s[6:7], v[8:9]
	v_lshl_add_u64 v[14:15], v[14:15], 3, v[10:11]
	v_lshl_add_u64 v[0:1], v[0:1], 3, s[4:5]
	s_delay_alu instid0(VALU_DEP_3) | instskip(NEXT) | instid1(VALU_DEP_1)
	v_sub_nc_u64_e64 v[16:17], v[16:17], s[0:1]
	v_lshl_add_u64 v[16:17], v[16:17], 3, v[10:11]
	s_clause 0x3
	global_load_b64 v[20:21], v[14:15], off offset:8
	global_load_b64 v[22:23], v[16:17], off offset:8
	;; [unrolled: 1-line block ×4, first 2 shown]
	s_wait_loadcnt 0x4
	v_fmac_f64_e32 v[18:19], -2.0, v[6:7]
	s_wait_loadcnt 0x3
	v_fmac_f64_e32 v[20:21], -2.0, v[6:7]
	;; [unrolled: 2-line block ×3, first 2 shown]
	s_delay_alu instid0(VALU_DEP_3) | instskip(NEXT) | instid1(VALU_DEP_3)
	v_add_f64_e32 v[2:3], v[18:19], v[22:23]
	v_add_f64_e32 v[10:11], v[10:11], v[20:21]
	s_delay_alu instid0(VALU_DEP_3) | instskip(NEXT) | instid1(VALU_DEP_3)
	v_add_f64_e32 v[4:5], v[14:15], v[4:5]
	v_ldexp_f64 v[2:3], v[2:3], -3
	s_delay_alu instid0(VALU_DEP_1) | instskip(NEXT) | instid1(VALU_DEP_1)
	v_fmac_f64_e32 v[2:3], 0x3fc00000, v[10:11]
	v_fmac_f64_e32 v[2:3], 0x3fc00000, v[4:5]
	s_delay_alu instid0(VALU_DEP_1)
	v_add_f64_e32 v[2:3], v[6:7], v[2:3]
	global_store_b64 v[0:1], v[2:3], off offset:8
.LBB3_2:
	s_endpgm
	.section	.rodata,"a",@progbits
	.p2align	6, 0x0
	.amdhsa_kernel _ZN8rajaperf9polybench16poly_heat_3D_lamILm32ELm8ELm1EZNS0_17POLYBENCH_HEAT_3D17runHipVariantImplILm256EEEvNS_9VariantIDEEUllllE0_EEvlT2_
		.amdhsa_group_segment_fixed_size 0
		.amdhsa_private_segment_fixed_size 0
		.amdhsa_kernarg_size 32
		.amdhsa_user_sgpr_count 2
		.amdhsa_user_sgpr_dispatch_ptr 0
		.amdhsa_user_sgpr_queue_ptr 0
		.amdhsa_user_sgpr_kernarg_segment_ptr 1
		.amdhsa_user_sgpr_dispatch_id 0
		.amdhsa_user_sgpr_kernarg_preload_length 0
		.amdhsa_user_sgpr_kernarg_preload_offset 0
		.amdhsa_user_sgpr_private_segment_size 0
		.amdhsa_wavefront_size32 1
		.amdhsa_uses_dynamic_stack 0
		.amdhsa_enable_private_segment 0
		.amdhsa_system_sgpr_workgroup_id_x 1
		.amdhsa_system_sgpr_workgroup_id_y 1
		.amdhsa_system_sgpr_workgroup_id_z 1
		.amdhsa_system_sgpr_workgroup_info 0
		.amdhsa_system_vgpr_workitem_id 1
		.amdhsa_next_free_vgpr 24
		.amdhsa_next_free_sgpr 12
		.amdhsa_named_barrier_count 0
		.amdhsa_reserve_vcc 1
		.amdhsa_float_round_mode_32 0
		.amdhsa_float_round_mode_16_64 0
		.amdhsa_float_denorm_mode_32 3
		.amdhsa_float_denorm_mode_16_64 3
		.amdhsa_fp16_overflow 0
		.amdhsa_memory_ordered 1
		.amdhsa_forward_progress 1
		.amdhsa_inst_pref_size 5
		.amdhsa_round_robin_scheduling 0
		.amdhsa_exception_fp_ieee_invalid_op 0
		.amdhsa_exception_fp_denorm_src 0
		.amdhsa_exception_fp_ieee_div_zero 0
		.amdhsa_exception_fp_ieee_overflow 0
		.amdhsa_exception_fp_ieee_underflow 0
		.amdhsa_exception_fp_ieee_inexact 0
		.amdhsa_exception_int_div_zero 0
	.end_amdhsa_kernel
	.section	.text._ZN8rajaperf9polybench16poly_heat_3D_lamILm32ELm8ELm1EZNS0_17POLYBENCH_HEAT_3D17runHipVariantImplILm256EEEvNS_9VariantIDEEUllllE0_EEvlT2_,"axG",@progbits,_ZN8rajaperf9polybench16poly_heat_3D_lamILm32ELm8ELm1EZNS0_17POLYBENCH_HEAT_3D17runHipVariantImplILm256EEEvNS_9VariantIDEEUllllE0_EEvlT2_,comdat
.Lfunc_end3:
	.size	_ZN8rajaperf9polybench16poly_heat_3D_lamILm32ELm8ELm1EZNS0_17POLYBENCH_HEAT_3D17runHipVariantImplILm256EEEvNS_9VariantIDEEUllllE0_EEvlT2_, .Lfunc_end3-_ZN8rajaperf9polybench16poly_heat_3D_lamILm32ELm8ELm1EZNS0_17POLYBENCH_HEAT_3D17runHipVariantImplILm256EEEvNS_9VariantIDEEUllllE0_EEvlT2_
                                        ; -- End function
	.set _ZN8rajaperf9polybench16poly_heat_3D_lamILm32ELm8ELm1EZNS0_17POLYBENCH_HEAT_3D17runHipVariantImplILm256EEEvNS_9VariantIDEEUllllE0_EEvlT2_.num_vgpr, 24
	.set _ZN8rajaperf9polybench16poly_heat_3D_lamILm32ELm8ELm1EZNS0_17POLYBENCH_HEAT_3D17runHipVariantImplILm256EEEvNS_9VariantIDEEUllllE0_EEvlT2_.num_agpr, 0
	.set _ZN8rajaperf9polybench16poly_heat_3D_lamILm32ELm8ELm1EZNS0_17POLYBENCH_HEAT_3D17runHipVariantImplILm256EEEvNS_9VariantIDEEUllllE0_EEvlT2_.numbered_sgpr, 12
	.set _ZN8rajaperf9polybench16poly_heat_3D_lamILm32ELm8ELm1EZNS0_17POLYBENCH_HEAT_3D17runHipVariantImplILm256EEEvNS_9VariantIDEEUllllE0_EEvlT2_.num_named_barrier, 0
	.set _ZN8rajaperf9polybench16poly_heat_3D_lamILm32ELm8ELm1EZNS0_17POLYBENCH_HEAT_3D17runHipVariantImplILm256EEEvNS_9VariantIDEEUllllE0_EEvlT2_.private_seg_size, 0
	.set _ZN8rajaperf9polybench16poly_heat_3D_lamILm32ELm8ELm1EZNS0_17POLYBENCH_HEAT_3D17runHipVariantImplILm256EEEvNS_9VariantIDEEUllllE0_EEvlT2_.uses_vcc, 1
	.set _ZN8rajaperf9polybench16poly_heat_3D_lamILm32ELm8ELm1EZNS0_17POLYBENCH_HEAT_3D17runHipVariantImplILm256EEEvNS_9VariantIDEEUllllE0_EEvlT2_.uses_flat_scratch, 0
	.set _ZN8rajaperf9polybench16poly_heat_3D_lamILm32ELm8ELm1EZNS0_17POLYBENCH_HEAT_3D17runHipVariantImplILm256EEEvNS_9VariantIDEEUllllE0_EEvlT2_.has_dyn_sized_stack, 0
	.set _ZN8rajaperf9polybench16poly_heat_3D_lamILm32ELm8ELm1EZNS0_17POLYBENCH_HEAT_3D17runHipVariantImplILm256EEEvNS_9VariantIDEEUllllE0_EEvlT2_.has_recursion, 0
	.set _ZN8rajaperf9polybench16poly_heat_3D_lamILm32ELm8ELm1EZNS0_17POLYBENCH_HEAT_3D17runHipVariantImplILm256EEEvNS_9VariantIDEEUllllE0_EEvlT2_.has_indirect_call, 0
	.section	.AMDGPU.csdata,"",@progbits
; Kernel info:
; codeLenInByte = 600
; TotalNumSgprs: 14
; NumVgprs: 24
; ScratchSize: 0
; MemoryBound: 0
; FloatMode: 240
; IeeeMode: 1
; LDSByteSize: 0 bytes/workgroup (compile time only)
; SGPRBlocks: 0
; VGPRBlocks: 1
; NumSGPRsForWavesPerEU: 14
; NumVGPRsForWavesPerEU: 24
; NamedBarCnt: 0
; Occupancy: 16
; WaveLimiterHint : 0
; COMPUTE_PGM_RSRC2:SCRATCH_EN: 0
; COMPUTE_PGM_RSRC2:USER_SGPR: 2
; COMPUTE_PGM_RSRC2:TRAP_HANDLER: 0
; COMPUTE_PGM_RSRC2:TGID_X_EN: 1
; COMPUTE_PGM_RSRC2:TGID_Y_EN: 1
; COMPUTE_PGM_RSRC2:TGID_Z_EN: 1
; COMPUTE_PGM_RSRC2:TIDIG_COMP_CNT: 1
	.section	.text._ZN4RAJA8internal22HipKernelLauncherFixedILi256ENS0_8LoopDataIN4camp5tupleIJNS_4SpanINS_9Iterators16numeric_iteratorIllPlEElEESA_SA_EEENS4_IJEEENS3_9resources2v13HipEJZN8rajaperf9polybench17POLYBENCH_HEAT_3D17runHipVariantImplILm256EEEvNSG_9VariantIDEEUllllE1_EEENS0_24HipStatementListExecutorISM_NS3_4listIJNS_9statement3ForILl0ENS_6policy3hip11hip_indexerINS_17iteration_mapping6DirectELNS_23kernel_sync_requirementE0EJNS_3hip11IndexGlobalILNS_9named_dimE2ELin1ELi0EEEEEEJNSQ_ILl1ENST_ISV_LSW_0EJNSY_ILSZ_1ELi8ELi0EEEEEEJNSQ_ILl2ENST_ISV_LSW_0EJNSY_ILSZ_0ELi32ELi0EEEEEEJNSP_6LambdaILl0EJEEEEEEEEEEEEEEENS0_9LoopTypesINSO_IJvvvEEES1D_EEEEEEvT0_,"axG",@progbits,_ZN4RAJA8internal22HipKernelLauncherFixedILi256ENS0_8LoopDataIN4camp5tupleIJNS_4SpanINS_9Iterators16numeric_iteratorIllPlEElEESA_SA_EEENS4_IJEEENS3_9resources2v13HipEJZN8rajaperf9polybench17POLYBENCH_HEAT_3D17runHipVariantImplILm256EEEvNSG_9VariantIDEEUllllE1_EEENS0_24HipStatementListExecutorISM_NS3_4listIJNS_9statement3ForILl0ENS_6policy3hip11hip_indexerINS_17iteration_mapping6DirectELNS_23kernel_sync_requirementE0EJNS_3hip11IndexGlobalILNS_9named_dimE2ELin1ELi0EEEEEEJNSQ_ILl1ENST_ISV_LSW_0EJNSY_ILSZ_1ELi8ELi0EEEEEEJNSQ_ILl2ENST_ISV_LSW_0EJNSY_ILSZ_0ELi32ELi0EEEEEEJNSP_6LambdaILl0EJEEEEEEEEEEEEEEENS0_9LoopTypesINSO_IJvvvEEES1D_EEEEEEvT0_,comdat
	.protected	_ZN4RAJA8internal22HipKernelLauncherFixedILi256ENS0_8LoopDataIN4camp5tupleIJNS_4SpanINS_9Iterators16numeric_iteratorIllPlEElEESA_SA_EEENS4_IJEEENS3_9resources2v13HipEJZN8rajaperf9polybench17POLYBENCH_HEAT_3D17runHipVariantImplILm256EEEvNSG_9VariantIDEEUllllE1_EEENS0_24HipStatementListExecutorISM_NS3_4listIJNS_9statement3ForILl0ENS_6policy3hip11hip_indexerINS_17iteration_mapping6DirectELNS_23kernel_sync_requirementE0EJNS_3hip11IndexGlobalILNS_9named_dimE2ELin1ELi0EEEEEEJNSQ_ILl1ENST_ISV_LSW_0EJNSY_ILSZ_1ELi8ELi0EEEEEEJNSQ_ILl2ENST_ISV_LSW_0EJNSY_ILSZ_0ELi32ELi0EEEEEEJNSP_6LambdaILl0EJEEEEEEEEEEEEEEENS0_9LoopTypesINSO_IJvvvEEES1D_EEEEEEvT0_ ; -- Begin function _ZN4RAJA8internal22HipKernelLauncherFixedILi256ENS0_8LoopDataIN4camp5tupleIJNS_4SpanINS_9Iterators16numeric_iteratorIllPlEElEESA_SA_EEENS4_IJEEENS3_9resources2v13HipEJZN8rajaperf9polybench17POLYBENCH_HEAT_3D17runHipVariantImplILm256EEEvNSG_9VariantIDEEUllllE1_EEENS0_24HipStatementListExecutorISM_NS3_4listIJNS_9statement3ForILl0ENS_6policy3hip11hip_indexerINS_17iteration_mapping6DirectELNS_23kernel_sync_requirementE0EJNS_3hip11IndexGlobalILNS_9named_dimE2ELin1ELi0EEEEEEJNSQ_ILl1ENST_ISV_LSW_0EJNSY_ILSZ_1ELi8ELi0EEEEEEJNSQ_ILl2ENST_ISV_LSW_0EJNSY_ILSZ_0ELi32ELi0EEEEEEJNSP_6LambdaILl0EJEEEEEEEEEEEEEEENS0_9LoopTypesINSO_IJvvvEEES1D_EEEEEEvT0_
	.globl	_ZN4RAJA8internal22HipKernelLauncherFixedILi256ENS0_8LoopDataIN4camp5tupleIJNS_4SpanINS_9Iterators16numeric_iteratorIllPlEElEESA_SA_EEENS4_IJEEENS3_9resources2v13HipEJZN8rajaperf9polybench17POLYBENCH_HEAT_3D17runHipVariantImplILm256EEEvNSG_9VariantIDEEUllllE1_EEENS0_24HipStatementListExecutorISM_NS3_4listIJNS_9statement3ForILl0ENS_6policy3hip11hip_indexerINS_17iteration_mapping6DirectELNS_23kernel_sync_requirementE0EJNS_3hip11IndexGlobalILNS_9named_dimE2ELin1ELi0EEEEEEJNSQ_ILl1ENST_ISV_LSW_0EJNSY_ILSZ_1ELi8ELi0EEEEEEJNSQ_ILl2ENST_ISV_LSW_0EJNSY_ILSZ_0ELi32ELi0EEEEEEJNSP_6LambdaILl0EJEEEEEEEEEEEEEEENS0_9LoopTypesINSO_IJvvvEEES1D_EEEEEEvT0_
	.p2align	8
	.type	_ZN4RAJA8internal22HipKernelLauncherFixedILi256ENS0_8LoopDataIN4camp5tupleIJNS_4SpanINS_9Iterators16numeric_iteratorIllPlEElEESA_SA_EEENS4_IJEEENS3_9resources2v13HipEJZN8rajaperf9polybench17POLYBENCH_HEAT_3D17runHipVariantImplILm256EEEvNSG_9VariantIDEEUllllE1_EEENS0_24HipStatementListExecutorISM_NS3_4listIJNS_9statement3ForILl0ENS_6policy3hip11hip_indexerINS_17iteration_mapping6DirectELNS_23kernel_sync_requirementE0EJNS_3hip11IndexGlobalILNS_9named_dimE2ELin1ELi0EEEEEEJNSQ_ILl1ENST_ISV_LSW_0EJNSY_ILSZ_1ELi8ELi0EEEEEEJNSQ_ILl2ENST_ISV_LSW_0EJNSY_ILSZ_0ELi32ELi0EEEEEEJNSP_6LambdaILl0EJEEEEEEEEEEEEEEENS0_9LoopTypesINSO_IJvvvEEES1D_EEEEEEvT0_,@function
_ZN4RAJA8internal22HipKernelLauncherFixedILi256ENS0_8LoopDataIN4camp5tupleIJNS_4SpanINS_9Iterators16numeric_iteratorIllPlEElEESA_SA_EEENS4_IJEEENS3_9resources2v13HipEJZN8rajaperf9polybench17POLYBENCH_HEAT_3D17runHipVariantImplILm256EEEvNSG_9VariantIDEEUllllE1_EEENS0_24HipStatementListExecutorISM_NS3_4listIJNS_9statement3ForILl0ENS_6policy3hip11hip_indexerINS_17iteration_mapping6DirectELNS_23kernel_sync_requirementE0EJNS_3hip11IndexGlobalILNS_9named_dimE2ELin1ELi0EEEEEEJNSQ_ILl1ENST_ISV_LSW_0EJNSY_ILSZ_1ELi8ELi0EEEEEEJNSQ_ILl2ENST_ISV_LSW_0EJNSY_ILSZ_0ELi32ELi0EEEEEEJNSP_6LambdaILl0EJEEEEEEEEEEEEEEENS0_9LoopTypesINSO_IJvvvEEES1D_EEEEEEvT0_: ; @_ZN4RAJA8internal22HipKernelLauncherFixedILi256ENS0_8LoopDataIN4camp5tupleIJNS_4SpanINS_9Iterators16numeric_iteratorIllPlEElEESA_SA_EEENS4_IJEEENS3_9resources2v13HipEJZN8rajaperf9polybench17POLYBENCH_HEAT_3D17runHipVariantImplILm256EEEvNSG_9VariantIDEEUllllE1_EEENS0_24HipStatementListExecutorISM_NS3_4listIJNS_9statement3ForILl0ENS_6policy3hip11hip_indexerINS_17iteration_mapping6DirectELNS_23kernel_sync_requirementE0EJNS_3hip11IndexGlobalILNS_9named_dimE2ELin1ELi0EEEEEEJNSQ_ILl1ENST_ISV_LSW_0EJNSY_ILSZ_1ELi8ELi0EEEEEEJNSQ_ILl2ENST_ISV_LSW_0EJNSY_ILSZ_0ELi32ELi0EEEEEEJNSP_6LambdaILl0EJEEEEEEEEEEEEEEENS0_9LoopTypesINSO_IJvvvEEES1D_EEEEEEvT0_
; %bb.0:
	s_bfe_u32 s2, ttmp6, 0x40010
	s_and_b32 s3, ttmp7, 0xffff
	s_add_co_i32 s2, s2, 1
	s_bfe_u32 s17, ttmp6, 0x4000c
	s_mul_i32 s2, s3, s2
	s_bfe_u32 s16, ttmp6, 0x40004
	s_add_co_i32 s17, s17, 1
	s_bfe_u32 s18, ttmp6, 0x40014
	s_add_co_i32 s16, s16, s2
	s_and_b32 s2, ttmp6, 15
	s_mul_i32 s17, ttmp9, s17
	s_lshr_b32 s19, ttmp7, 16
	s_add_co_i32 s18, s18, 1
	s_clause 0x1
	s_load_b256 s[4:11], s[0:1], 0x0
	s_load_b128 s[12:15], s[0:1], 0x20
	s_add_co_i32 s2, s2, s17
	s_mul_i32 s17, s19, s18
	s_bfe_u32 s18, ttmp6, 0x40008
	s_getreg_b32 s20, hwreg(HW_REG_IB_STS2, 6, 4)
	s_add_co_i32 s18, s18, s17
	s_cmp_eq_u32 s20, 0
	v_bfe_u32 v4, v0, 10, 10
	v_mov_b32_e32 v5, 0
	s_mov_b32 s21, 0
	s_cselect_b32 s3, s3, s16
	s_cselect_b32 s20, s19, s18
	s_cselect_b32 s2, ttmp9, s2
	s_lshl_b32 s16, s3, 3
	s_mov_b32 s17, s21
	s_mov_b32 s3, s21
	v_add_nc_u64_e32 v[2:3], s[16:17], v[4:5]
	v_and_b32_e32 v4, 0x3ff, v0
	s_lshl_b64 s[2:3], s[2:3], 5
	s_wait_kmcnt 0x0
	s_sub_nc_u64 s[6:7], s[6:7], s[4:5]
	s_delay_alu instid0(VALU_DEP_1) | instskip(SKIP_4) | instid1(VALU_DEP_3)
	v_add_nc_u64_e32 v[0:1], s[2:3], v[4:5]
	s_sub_nc_u64 s[2:3], s[10:11], s[8:9]
	s_sub_nc_u64 s[10:11], s[14:15], s[12:13]
	v_cmp_gt_i64_e32 vcc_lo, s[2:3], v[2:3]
	v_cmp_gt_i64_e64 s3, s[6:7], s[20:21]
	v_cmp_gt_i64_e64 s2, s[10:11], v[0:1]
	s_and_b32 s2, vcc_lo, s2
	s_delay_alu instid0(SALU_CYCLE_1) | instskip(NEXT) | instid1(SALU_CYCLE_1)
	s_and_b32 s2, s2, s3
	s_and_saveexec_b32 s3, s2
	s_cbranch_execz .LBB4_2
; %bb.1:
	s_clause 0x1
	s_load_b128 s[16:19], s[0:1], 0xd0
	s_load_b64 s[2:3], s[0:1], 0xb0
	v_add_nc_u64_e32 v[4:5], s[8:9], v[2:3]
	v_add_nc_u64_e32 v[0:1], s[12:13], v[0:1]
	s_add_nc_u64 s[8:9], s[4:5], s[20:21]
	s_delay_alu instid0(VALU_DEP_1) | instskip(SKIP_1) | instid1(VALU_DEP_3)
	v_lshlrev_b64_e32 v[10:11], 3, v[0:1]
	s_wait_kmcnt 0x0
	v_mul_u64_e32 v[2:3], s[18:19], v[4:5]
	s_mul_u64 s[4:5], s[16:17], s[8:9]
	s_lshl_b64 s[10:11], s[18:19], 1
	s_lshl_b64 s[6:7], s[4:5], 3
	s_delay_alu instid0(VALU_DEP_1) | instskip(SKIP_1) | instid1(VALU_DEP_2)
	v_lshl_add_u64 v[6:7], v[2:3], 3, s[2:3]
	v_add_nc_u64_e32 v[14:15], s[18:19], v[2:3]
	v_lshl_add_u64 v[8:9], s[18:19], 3, v[6:7]
	v_add_nc_u64_e32 v[0:1], s[6:7], v[6:7]
	s_delay_alu instid0(VALU_DEP_2) | instskip(NEXT) | instid1(VALU_DEP_2)
	v_add_nc_u64_e32 v[8:9], s[6:7], v[8:9]
	v_add_nc_u64_e32 v[12:13], v[0:1], v[10:11]
	s_delay_alu instid0(VALU_DEP_2)
	v_add_nc_u64_e32 v[8:9], v[8:9], v[10:11]
	s_clause 0x1
	global_load_b128 v[0:3], v[12:13], off offset:-8
	global_load_b64 v[16:17], v[8:9], off
	s_wait_xcnt 0x0
	v_sub_nc_u64_e64 v[8:9], v[14:15], s[10:11]
	s_delay_alu instid0(VALU_DEP_1) | instskip(SKIP_1) | instid1(SALU_CYCLE_1)
	v_lshl_add_u64 v[8:9], v[8:9], 3, s[2:3]
	s_add_nc_u64 s[2:3], s[8:9], 1
	s_mul_u64 s[2:3], s[16:17], s[2:3]
	s_delay_alu instid0(VALU_DEP_1)
	v_add_nc_u64_e32 v[8:9], s[6:7], v[8:9]
	v_lshl_add_u64 v[14:15], s[2:3], 3, v[6:7]
	s_sub_nc_u64 s[2:3], s[4:5], s[16:17]
	s_load_b128 s[4:7], s[0:1], 0x68
	v_lshl_add_u64 v[6:7], s[2:3], 3, v[6:7]
	s_wait_xcnt 0x0
	s_load_b64 s[0:1], s[0:1], 0x48
	v_add_nc_u64_e32 v[14:15], v[14:15], v[10:11]
	v_add_nc_u64_e32 v[8:9], v[8:9], v[10:11]
	s_clause 0x1
	global_load_b64 v[18:19], v[14:15], off
	global_load_b64 v[20:21], v[8:9], off
	v_add_nc_u64_e32 v[6:7], v[6:7], v[10:11]
	s_clause 0x1
	global_load_b64 v[8:9], v[6:7], off
	global_load_b64 v[14:15], v[12:13], off offset:8
	s_wait_loadcnt 0x4
	v_fmac_f64_e32 v[16:17], -2.0, v[2:3]
	s_wait_loadcnt 0x3
	v_fmac_f64_e32 v[18:19], -2.0, v[2:3]
	s_wait_loadcnt 0x2
	s_wait_xcnt 0x1
	s_delay_alu instid0(VALU_DEP_2) | instskip(SKIP_2) | instid1(VALU_DEP_3)
	v_add_f64_e32 v[6:7], v[16:17], v[20:21]
	s_wait_loadcnt 0x0
	v_fmac_f64_e32 v[14:15], -2.0, v[2:3]
	v_add_f64_e32 v[8:9], v[8:9], v[18:19]
	s_delay_alu instid0(VALU_DEP_3) | instskip(NEXT) | instid1(VALU_DEP_3)
	v_ldexp_f64 v[6:7], v[6:7], -3
	v_add_f64_e32 v[0:1], v[14:15], v[0:1]
	s_delay_alu instid0(VALU_DEP_2) | instskip(NEXT) | instid1(VALU_DEP_1)
	v_fmac_f64_e32 v[6:7], 0x3fc00000, v[8:9]
	v_fmac_f64_e32 v[6:7], 0x3fc00000, v[0:1]
	s_wait_kmcnt 0x0
	v_mul_u64_e32 v[0:1], s[6:7], v[4:5]
	s_delay_alu instid0(VALU_DEP_2) | instskip(NEXT) | instid1(VALU_DEP_2)
	v_add_f64_e32 v[2:3], v[2:3], v[6:7]
	v_lshl_add_u64 v[0:1], v[0:1], 3, s[0:1]
	s_mul_u64 s[0:1], s[4:5], s[8:9]
	s_delay_alu instid0(VALU_DEP_1) | instid1(SALU_CYCLE_1)
	v_lshl_add_u64 v[0:1], s[0:1], 3, v[0:1]
	s_delay_alu instid0(VALU_DEP_1)
	v_add_nc_u64_e32 v[0:1], v[0:1], v[10:11]
	global_store_b64 v[0:1], v[2:3], off
.LBB4_2:
	s_endpgm
	.section	.rodata,"a",@progbits
	.p2align	6, 0x0
	.amdhsa_kernel _ZN4RAJA8internal22HipKernelLauncherFixedILi256ENS0_8LoopDataIN4camp5tupleIJNS_4SpanINS_9Iterators16numeric_iteratorIllPlEElEESA_SA_EEENS4_IJEEENS3_9resources2v13HipEJZN8rajaperf9polybench17POLYBENCH_HEAT_3D17runHipVariantImplILm256EEEvNSG_9VariantIDEEUllllE1_EEENS0_24HipStatementListExecutorISM_NS3_4listIJNS_9statement3ForILl0ENS_6policy3hip11hip_indexerINS_17iteration_mapping6DirectELNS_23kernel_sync_requirementE0EJNS_3hip11IndexGlobalILNS_9named_dimE2ELin1ELi0EEEEEEJNSQ_ILl1ENST_ISV_LSW_0EJNSY_ILSZ_1ELi8ELi0EEEEEEJNSQ_ILl2ENST_ISV_LSW_0EJNSY_ILSZ_0ELi32ELi0EEEEEEJNSP_6LambdaILl0EJEEEEEEEEEEEEEEENS0_9LoopTypesINSO_IJvvvEEES1D_EEEEEEvT0_
		.amdhsa_group_segment_fixed_size 0
		.amdhsa_private_segment_fixed_size 0
		.amdhsa_kernarg_size 320
		.amdhsa_user_sgpr_count 2
		.amdhsa_user_sgpr_dispatch_ptr 0
		.amdhsa_user_sgpr_queue_ptr 0
		.amdhsa_user_sgpr_kernarg_segment_ptr 1
		.amdhsa_user_sgpr_dispatch_id 0
		.amdhsa_user_sgpr_kernarg_preload_length 0
		.amdhsa_user_sgpr_kernarg_preload_offset 0
		.amdhsa_user_sgpr_private_segment_size 0
		.amdhsa_wavefront_size32 1
		.amdhsa_uses_dynamic_stack 0
		.amdhsa_enable_private_segment 0
		.amdhsa_system_sgpr_workgroup_id_x 1
		.amdhsa_system_sgpr_workgroup_id_y 1
		.amdhsa_system_sgpr_workgroup_id_z 1
		.amdhsa_system_sgpr_workgroup_info 0
		.amdhsa_system_vgpr_workitem_id 1
		.amdhsa_next_free_vgpr 22
		.amdhsa_next_free_sgpr 22
		.amdhsa_named_barrier_count 0
		.amdhsa_reserve_vcc 1
		.amdhsa_float_round_mode_32 0
		.amdhsa_float_round_mode_16_64 0
		.amdhsa_float_denorm_mode_32 3
		.amdhsa_float_denorm_mode_16_64 3
		.amdhsa_fp16_overflow 0
		.amdhsa_memory_ordered 1
		.amdhsa_forward_progress 1
		.amdhsa_inst_pref_size 6
		.amdhsa_round_robin_scheduling 0
		.amdhsa_exception_fp_ieee_invalid_op 0
		.amdhsa_exception_fp_denorm_src 0
		.amdhsa_exception_fp_ieee_div_zero 0
		.amdhsa_exception_fp_ieee_overflow 0
		.amdhsa_exception_fp_ieee_underflow 0
		.amdhsa_exception_fp_ieee_inexact 0
		.amdhsa_exception_int_div_zero 0
	.end_amdhsa_kernel
	.section	.text._ZN4RAJA8internal22HipKernelLauncherFixedILi256ENS0_8LoopDataIN4camp5tupleIJNS_4SpanINS_9Iterators16numeric_iteratorIllPlEElEESA_SA_EEENS4_IJEEENS3_9resources2v13HipEJZN8rajaperf9polybench17POLYBENCH_HEAT_3D17runHipVariantImplILm256EEEvNSG_9VariantIDEEUllllE1_EEENS0_24HipStatementListExecutorISM_NS3_4listIJNS_9statement3ForILl0ENS_6policy3hip11hip_indexerINS_17iteration_mapping6DirectELNS_23kernel_sync_requirementE0EJNS_3hip11IndexGlobalILNS_9named_dimE2ELin1ELi0EEEEEEJNSQ_ILl1ENST_ISV_LSW_0EJNSY_ILSZ_1ELi8ELi0EEEEEEJNSQ_ILl2ENST_ISV_LSW_0EJNSY_ILSZ_0ELi32ELi0EEEEEEJNSP_6LambdaILl0EJEEEEEEEEEEEEEEENS0_9LoopTypesINSO_IJvvvEEES1D_EEEEEEvT0_,"axG",@progbits,_ZN4RAJA8internal22HipKernelLauncherFixedILi256ENS0_8LoopDataIN4camp5tupleIJNS_4SpanINS_9Iterators16numeric_iteratorIllPlEElEESA_SA_EEENS4_IJEEENS3_9resources2v13HipEJZN8rajaperf9polybench17POLYBENCH_HEAT_3D17runHipVariantImplILm256EEEvNSG_9VariantIDEEUllllE1_EEENS0_24HipStatementListExecutorISM_NS3_4listIJNS_9statement3ForILl0ENS_6policy3hip11hip_indexerINS_17iteration_mapping6DirectELNS_23kernel_sync_requirementE0EJNS_3hip11IndexGlobalILNS_9named_dimE2ELin1ELi0EEEEEEJNSQ_ILl1ENST_ISV_LSW_0EJNSY_ILSZ_1ELi8ELi0EEEEEEJNSQ_ILl2ENST_ISV_LSW_0EJNSY_ILSZ_0ELi32ELi0EEEEEEJNSP_6LambdaILl0EJEEEEEEEEEEEEEEENS0_9LoopTypesINSO_IJvvvEEES1D_EEEEEEvT0_,comdat
.Lfunc_end4:
	.size	_ZN4RAJA8internal22HipKernelLauncherFixedILi256ENS0_8LoopDataIN4camp5tupleIJNS_4SpanINS_9Iterators16numeric_iteratorIllPlEElEESA_SA_EEENS4_IJEEENS3_9resources2v13HipEJZN8rajaperf9polybench17POLYBENCH_HEAT_3D17runHipVariantImplILm256EEEvNSG_9VariantIDEEUllllE1_EEENS0_24HipStatementListExecutorISM_NS3_4listIJNS_9statement3ForILl0ENS_6policy3hip11hip_indexerINS_17iteration_mapping6DirectELNS_23kernel_sync_requirementE0EJNS_3hip11IndexGlobalILNS_9named_dimE2ELin1ELi0EEEEEEJNSQ_ILl1ENST_ISV_LSW_0EJNSY_ILSZ_1ELi8ELi0EEEEEEJNSQ_ILl2ENST_ISV_LSW_0EJNSY_ILSZ_0ELi32ELi0EEEEEEJNSP_6LambdaILl0EJEEEEEEEEEEEEEEENS0_9LoopTypesINSO_IJvvvEEES1D_EEEEEEvT0_, .Lfunc_end4-_ZN4RAJA8internal22HipKernelLauncherFixedILi256ENS0_8LoopDataIN4camp5tupleIJNS_4SpanINS_9Iterators16numeric_iteratorIllPlEElEESA_SA_EEENS4_IJEEENS3_9resources2v13HipEJZN8rajaperf9polybench17POLYBENCH_HEAT_3D17runHipVariantImplILm256EEEvNSG_9VariantIDEEUllllE1_EEENS0_24HipStatementListExecutorISM_NS3_4listIJNS_9statement3ForILl0ENS_6policy3hip11hip_indexerINS_17iteration_mapping6DirectELNS_23kernel_sync_requirementE0EJNS_3hip11IndexGlobalILNS_9named_dimE2ELin1ELi0EEEEEEJNSQ_ILl1ENST_ISV_LSW_0EJNSY_ILSZ_1ELi8ELi0EEEEEEJNSQ_ILl2ENST_ISV_LSW_0EJNSY_ILSZ_0ELi32ELi0EEEEEEJNSP_6LambdaILl0EJEEEEEEEEEEEEEEENS0_9LoopTypesINSO_IJvvvEEES1D_EEEEEEvT0_
                                        ; -- End function
	.set _ZN4RAJA8internal22HipKernelLauncherFixedILi256ENS0_8LoopDataIN4camp5tupleIJNS_4SpanINS_9Iterators16numeric_iteratorIllPlEElEESA_SA_EEENS4_IJEEENS3_9resources2v13HipEJZN8rajaperf9polybench17POLYBENCH_HEAT_3D17runHipVariantImplILm256EEEvNSG_9VariantIDEEUllllE1_EEENS0_24HipStatementListExecutorISM_NS3_4listIJNS_9statement3ForILl0ENS_6policy3hip11hip_indexerINS_17iteration_mapping6DirectELNS_23kernel_sync_requirementE0EJNS_3hip11IndexGlobalILNS_9named_dimE2ELin1ELi0EEEEEEJNSQ_ILl1ENST_ISV_LSW_0EJNSY_ILSZ_1ELi8ELi0EEEEEEJNSQ_ILl2ENST_ISV_LSW_0EJNSY_ILSZ_0ELi32ELi0EEEEEEJNSP_6LambdaILl0EJEEEEEEEEEEEEEEENS0_9LoopTypesINSO_IJvvvEEES1D_EEEEEEvT0_.num_vgpr, 22
	.set _ZN4RAJA8internal22HipKernelLauncherFixedILi256ENS0_8LoopDataIN4camp5tupleIJNS_4SpanINS_9Iterators16numeric_iteratorIllPlEElEESA_SA_EEENS4_IJEEENS3_9resources2v13HipEJZN8rajaperf9polybench17POLYBENCH_HEAT_3D17runHipVariantImplILm256EEEvNSG_9VariantIDEEUllllE1_EEENS0_24HipStatementListExecutorISM_NS3_4listIJNS_9statement3ForILl0ENS_6policy3hip11hip_indexerINS_17iteration_mapping6DirectELNS_23kernel_sync_requirementE0EJNS_3hip11IndexGlobalILNS_9named_dimE2ELin1ELi0EEEEEEJNSQ_ILl1ENST_ISV_LSW_0EJNSY_ILSZ_1ELi8ELi0EEEEEEJNSQ_ILl2ENST_ISV_LSW_0EJNSY_ILSZ_0ELi32ELi0EEEEEEJNSP_6LambdaILl0EJEEEEEEEEEEEEEEENS0_9LoopTypesINSO_IJvvvEEES1D_EEEEEEvT0_.num_agpr, 0
	.set _ZN4RAJA8internal22HipKernelLauncherFixedILi256ENS0_8LoopDataIN4camp5tupleIJNS_4SpanINS_9Iterators16numeric_iteratorIllPlEElEESA_SA_EEENS4_IJEEENS3_9resources2v13HipEJZN8rajaperf9polybench17POLYBENCH_HEAT_3D17runHipVariantImplILm256EEEvNSG_9VariantIDEEUllllE1_EEENS0_24HipStatementListExecutorISM_NS3_4listIJNS_9statement3ForILl0ENS_6policy3hip11hip_indexerINS_17iteration_mapping6DirectELNS_23kernel_sync_requirementE0EJNS_3hip11IndexGlobalILNS_9named_dimE2ELin1ELi0EEEEEEJNSQ_ILl1ENST_ISV_LSW_0EJNSY_ILSZ_1ELi8ELi0EEEEEEJNSQ_ILl2ENST_ISV_LSW_0EJNSY_ILSZ_0ELi32ELi0EEEEEEJNSP_6LambdaILl0EJEEEEEEEEEEEEEEENS0_9LoopTypesINSO_IJvvvEEES1D_EEEEEEvT0_.numbered_sgpr, 22
	.set _ZN4RAJA8internal22HipKernelLauncherFixedILi256ENS0_8LoopDataIN4camp5tupleIJNS_4SpanINS_9Iterators16numeric_iteratorIllPlEElEESA_SA_EEENS4_IJEEENS3_9resources2v13HipEJZN8rajaperf9polybench17POLYBENCH_HEAT_3D17runHipVariantImplILm256EEEvNSG_9VariantIDEEUllllE1_EEENS0_24HipStatementListExecutorISM_NS3_4listIJNS_9statement3ForILl0ENS_6policy3hip11hip_indexerINS_17iteration_mapping6DirectELNS_23kernel_sync_requirementE0EJNS_3hip11IndexGlobalILNS_9named_dimE2ELin1ELi0EEEEEEJNSQ_ILl1ENST_ISV_LSW_0EJNSY_ILSZ_1ELi8ELi0EEEEEEJNSQ_ILl2ENST_ISV_LSW_0EJNSY_ILSZ_0ELi32ELi0EEEEEEJNSP_6LambdaILl0EJEEEEEEEEEEEEEEENS0_9LoopTypesINSO_IJvvvEEES1D_EEEEEEvT0_.num_named_barrier, 0
	.set _ZN4RAJA8internal22HipKernelLauncherFixedILi256ENS0_8LoopDataIN4camp5tupleIJNS_4SpanINS_9Iterators16numeric_iteratorIllPlEElEESA_SA_EEENS4_IJEEENS3_9resources2v13HipEJZN8rajaperf9polybench17POLYBENCH_HEAT_3D17runHipVariantImplILm256EEEvNSG_9VariantIDEEUllllE1_EEENS0_24HipStatementListExecutorISM_NS3_4listIJNS_9statement3ForILl0ENS_6policy3hip11hip_indexerINS_17iteration_mapping6DirectELNS_23kernel_sync_requirementE0EJNS_3hip11IndexGlobalILNS_9named_dimE2ELin1ELi0EEEEEEJNSQ_ILl1ENST_ISV_LSW_0EJNSY_ILSZ_1ELi8ELi0EEEEEEJNSQ_ILl2ENST_ISV_LSW_0EJNSY_ILSZ_0ELi32ELi0EEEEEEJNSP_6LambdaILl0EJEEEEEEEEEEEEEEENS0_9LoopTypesINSO_IJvvvEEES1D_EEEEEEvT0_.private_seg_size, 0
	.set _ZN4RAJA8internal22HipKernelLauncherFixedILi256ENS0_8LoopDataIN4camp5tupleIJNS_4SpanINS_9Iterators16numeric_iteratorIllPlEElEESA_SA_EEENS4_IJEEENS3_9resources2v13HipEJZN8rajaperf9polybench17POLYBENCH_HEAT_3D17runHipVariantImplILm256EEEvNSG_9VariantIDEEUllllE1_EEENS0_24HipStatementListExecutorISM_NS3_4listIJNS_9statement3ForILl0ENS_6policy3hip11hip_indexerINS_17iteration_mapping6DirectELNS_23kernel_sync_requirementE0EJNS_3hip11IndexGlobalILNS_9named_dimE2ELin1ELi0EEEEEEJNSQ_ILl1ENST_ISV_LSW_0EJNSY_ILSZ_1ELi8ELi0EEEEEEJNSQ_ILl2ENST_ISV_LSW_0EJNSY_ILSZ_0ELi32ELi0EEEEEEJNSP_6LambdaILl0EJEEEEEEEEEEEEEEENS0_9LoopTypesINSO_IJvvvEEES1D_EEEEEEvT0_.uses_vcc, 1
	.set _ZN4RAJA8internal22HipKernelLauncherFixedILi256ENS0_8LoopDataIN4camp5tupleIJNS_4SpanINS_9Iterators16numeric_iteratorIllPlEElEESA_SA_EEENS4_IJEEENS3_9resources2v13HipEJZN8rajaperf9polybench17POLYBENCH_HEAT_3D17runHipVariantImplILm256EEEvNSG_9VariantIDEEUllllE1_EEENS0_24HipStatementListExecutorISM_NS3_4listIJNS_9statement3ForILl0ENS_6policy3hip11hip_indexerINS_17iteration_mapping6DirectELNS_23kernel_sync_requirementE0EJNS_3hip11IndexGlobalILNS_9named_dimE2ELin1ELi0EEEEEEJNSQ_ILl1ENST_ISV_LSW_0EJNSY_ILSZ_1ELi8ELi0EEEEEEJNSQ_ILl2ENST_ISV_LSW_0EJNSY_ILSZ_0ELi32ELi0EEEEEEJNSP_6LambdaILl0EJEEEEEEEEEEEEEEENS0_9LoopTypesINSO_IJvvvEEES1D_EEEEEEvT0_.uses_flat_scratch, 0
	.set _ZN4RAJA8internal22HipKernelLauncherFixedILi256ENS0_8LoopDataIN4camp5tupleIJNS_4SpanINS_9Iterators16numeric_iteratorIllPlEElEESA_SA_EEENS4_IJEEENS3_9resources2v13HipEJZN8rajaperf9polybench17POLYBENCH_HEAT_3D17runHipVariantImplILm256EEEvNSG_9VariantIDEEUllllE1_EEENS0_24HipStatementListExecutorISM_NS3_4listIJNS_9statement3ForILl0ENS_6policy3hip11hip_indexerINS_17iteration_mapping6DirectELNS_23kernel_sync_requirementE0EJNS_3hip11IndexGlobalILNS_9named_dimE2ELin1ELi0EEEEEEJNSQ_ILl1ENST_ISV_LSW_0EJNSY_ILSZ_1ELi8ELi0EEEEEEJNSQ_ILl2ENST_ISV_LSW_0EJNSY_ILSZ_0ELi32ELi0EEEEEEJNSP_6LambdaILl0EJEEEEEEEEEEEEEEENS0_9LoopTypesINSO_IJvvvEEES1D_EEEEEEvT0_.has_dyn_sized_stack, 0
	.set _ZN4RAJA8internal22HipKernelLauncherFixedILi256ENS0_8LoopDataIN4camp5tupleIJNS_4SpanINS_9Iterators16numeric_iteratorIllPlEElEESA_SA_EEENS4_IJEEENS3_9resources2v13HipEJZN8rajaperf9polybench17POLYBENCH_HEAT_3D17runHipVariantImplILm256EEEvNSG_9VariantIDEEUllllE1_EEENS0_24HipStatementListExecutorISM_NS3_4listIJNS_9statement3ForILl0ENS_6policy3hip11hip_indexerINS_17iteration_mapping6DirectELNS_23kernel_sync_requirementE0EJNS_3hip11IndexGlobalILNS_9named_dimE2ELin1ELi0EEEEEEJNSQ_ILl1ENST_ISV_LSW_0EJNSY_ILSZ_1ELi8ELi0EEEEEEJNSQ_ILl2ENST_ISV_LSW_0EJNSY_ILSZ_0ELi32ELi0EEEEEEJNSP_6LambdaILl0EJEEEEEEEEEEEEEEENS0_9LoopTypesINSO_IJvvvEEES1D_EEEEEEvT0_.has_recursion, 0
	.set _ZN4RAJA8internal22HipKernelLauncherFixedILi256ENS0_8LoopDataIN4camp5tupleIJNS_4SpanINS_9Iterators16numeric_iteratorIllPlEElEESA_SA_EEENS4_IJEEENS3_9resources2v13HipEJZN8rajaperf9polybench17POLYBENCH_HEAT_3D17runHipVariantImplILm256EEEvNSG_9VariantIDEEUllllE1_EEENS0_24HipStatementListExecutorISM_NS3_4listIJNS_9statement3ForILl0ENS_6policy3hip11hip_indexerINS_17iteration_mapping6DirectELNS_23kernel_sync_requirementE0EJNS_3hip11IndexGlobalILNS_9named_dimE2ELin1ELi0EEEEEEJNSQ_ILl1ENST_ISV_LSW_0EJNSY_ILSZ_1ELi8ELi0EEEEEEJNSQ_ILl2ENST_ISV_LSW_0EJNSY_ILSZ_0ELi32ELi0EEEEEEJNSP_6LambdaILl0EJEEEEEEEEEEEEEEENS0_9LoopTypesINSO_IJvvvEEES1D_EEEEEEvT0_.has_indirect_call, 0
	.section	.AMDGPU.csdata,"",@progbits
; Kernel info:
; codeLenInByte = 668
; TotalNumSgprs: 24
; NumVgprs: 22
; ScratchSize: 0
; MemoryBound: 0
; FloatMode: 240
; IeeeMode: 1
; LDSByteSize: 0 bytes/workgroup (compile time only)
; SGPRBlocks: 0
; VGPRBlocks: 1
; NumSGPRsForWavesPerEU: 24
; NumVGPRsForWavesPerEU: 22
; NamedBarCnt: 0
; Occupancy: 16
; WaveLimiterHint : 1
; COMPUTE_PGM_RSRC2:SCRATCH_EN: 0
; COMPUTE_PGM_RSRC2:USER_SGPR: 2
; COMPUTE_PGM_RSRC2:TRAP_HANDLER: 0
; COMPUTE_PGM_RSRC2:TGID_X_EN: 1
; COMPUTE_PGM_RSRC2:TGID_Y_EN: 1
; COMPUTE_PGM_RSRC2:TGID_Z_EN: 1
; COMPUTE_PGM_RSRC2:TIDIG_COMP_CNT: 1
	.section	.text._ZN4RAJA8internal22HipKernelLauncherFixedILi256ENS0_8LoopDataIN4camp5tupleIJNS_4SpanINS_9Iterators16numeric_iteratorIllPlEElEESA_SA_EEENS4_IJEEENS3_9resources2v13HipEJZN8rajaperf9polybench17POLYBENCH_HEAT_3D17runHipVariantImplILm256EEEvNSG_9VariantIDEEUllllE2_EEENS0_24HipStatementListExecutorISM_NS3_4listIJNS_9statement3ForILl0ENS_6policy3hip11hip_indexerINS_17iteration_mapping6DirectELNS_23kernel_sync_requirementE0EJNS_3hip11IndexGlobalILNS_9named_dimE2ELin1ELi0EEEEEEJNSQ_ILl1ENST_ISV_LSW_0EJNSY_ILSZ_1ELi8ELi0EEEEEEJNSQ_ILl2ENST_ISV_LSW_0EJNSY_ILSZ_0ELi32ELi0EEEEEEJNSP_6LambdaILl0EJEEEEEEEEEEEEEEENS0_9LoopTypesINSO_IJvvvEEES1D_EEEEEEvT0_,"axG",@progbits,_ZN4RAJA8internal22HipKernelLauncherFixedILi256ENS0_8LoopDataIN4camp5tupleIJNS_4SpanINS_9Iterators16numeric_iteratorIllPlEElEESA_SA_EEENS4_IJEEENS3_9resources2v13HipEJZN8rajaperf9polybench17POLYBENCH_HEAT_3D17runHipVariantImplILm256EEEvNSG_9VariantIDEEUllllE2_EEENS0_24HipStatementListExecutorISM_NS3_4listIJNS_9statement3ForILl0ENS_6policy3hip11hip_indexerINS_17iteration_mapping6DirectELNS_23kernel_sync_requirementE0EJNS_3hip11IndexGlobalILNS_9named_dimE2ELin1ELi0EEEEEEJNSQ_ILl1ENST_ISV_LSW_0EJNSY_ILSZ_1ELi8ELi0EEEEEEJNSQ_ILl2ENST_ISV_LSW_0EJNSY_ILSZ_0ELi32ELi0EEEEEEJNSP_6LambdaILl0EJEEEEEEEEEEEEEEENS0_9LoopTypesINSO_IJvvvEEES1D_EEEEEEvT0_,comdat
	.protected	_ZN4RAJA8internal22HipKernelLauncherFixedILi256ENS0_8LoopDataIN4camp5tupleIJNS_4SpanINS_9Iterators16numeric_iteratorIllPlEElEESA_SA_EEENS4_IJEEENS3_9resources2v13HipEJZN8rajaperf9polybench17POLYBENCH_HEAT_3D17runHipVariantImplILm256EEEvNSG_9VariantIDEEUllllE2_EEENS0_24HipStatementListExecutorISM_NS3_4listIJNS_9statement3ForILl0ENS_6policy3hip11hip_indexerINS_17iteration_mapping6DirectELNS_23kernel_sync_requirementE0EJNS_3hip11IndexGlobalILNS_9named_dimE2ELin1ELi0EEEEEEJNSQ_ILl1ENST_ISV_LSW_0EJNSY_ILSZ_1ELi8ELi0EEEEEEJNSQ_ILl2ENST_ISV_LSW_0EJNSY_ILSZ_0ELi32ELi0EEEEEEJNSP_6LambdaILl0EJEEEEEEEEEEEEEEENS0_9LoopTypesINSO_IJvvvEEES1D_EEEEEEvT0_ ; -- Begin function _ZN4RAJA8internal22HipKernelLauncherFixedILi256ENS0_8LoopDataIN4camp5tupleIJNS_4SpanINS_9Iterators16numeric_iteratorIllPlEElEESA_SA_EEENS4_IJEEENS3_9resources2v13HipEJZN8rajaperf9polybench17POLYBENCH_HEAT_3D17runHipVariantImplILm256EEEvNSG_9VariantIDEEUllllE2_EEENS0_24HipStatementListExecutorISM_NS3_4listIJNS_9statement3ForILl0ENS_6policy3hip11hip_indexerINS_17iteration_mapping6DirectELNS_23kernel_sync_requirementE0EJNS_3hip11IndexGlobalILNS_9named_dimE2ELin1ELi0EEEEEEJNSQ_ILl1ENST_ISV_LSW_0EJNSY_ILSZ_1ELi8ELi0EEEEEEJNSQ_ILl2ENST_ISV_LSW_0EJNSY_ILSZ_0ELi32ELi0EEEEEEJNSP_6LambdaILl0EJEEEEEEEEEEEEEEENS0_9LoopTypesINSO_IJvvvEEES1D_EEEEEEvT0_
	.globl	_ZN4RAJA8internal22HipKernelLauncherFixedILi256ENS0_8LoopDataIN4camp5tupleIJNS_4SpanINS_9Iterators16numeric_iteratorIllPlEElEESA_SA_EEENS4_IJEEENS3_9resources2v13HipEJZN8rajaperf9polybench17POLYBENCH_HEAT_3D17runHipVariantImplILm256EEEvNSG_9VariantIDEEUllllE2_EEENS0_24HipStatementListExecutorISM_NS3_4listIJNS_9statement3ForILl0ENS_6policy3hip11hip_indexerINS_17iteration_mapping6DirectELNS_23kernel_sync_requirementE0EJNS_3hip11IndexGlobalILNS_9named_dimE2ELin1ELi0EEEEEEJNSQ_ILl1ENST_ISV_LSW_0EJNSY_ILSZ_1ELi8ELi0EEEEEEJNSQ_ILl2ENST_ISV_LSW_0EJNSY_ILSZ_0ELi32ELi0EEEEEEJNSP_6LambdaILl0EJEEEEEEEEEEEEEEENS0_9LoopTypesINSO_IJvvvEEES1D_EEEEEEvT0_
	.p2align	8
	.type	_ZN4RAJA8internal22HipKernelLauncherFixedILi256ENS0_8LoopDataIN4camp5tupleIJNS_4SpanINS_9Iterators16numeric_iteratorIllPlEElEESA_SA_EEENS4_IJEEENS3_9resources2v13HipEJZN8rajaperf9polybench17POLYBENCH_HEAT_3D17runHipVariantImplILm256EEEvNSG_9VariantIDEEUllllE2_EEENS0_24HipStatementListExecutorISM_NS3_4listIJNS_9statement3ForILl0ENS_6policy3hip11hip_indexerINS_17iteration_mapping6DirectELNS_23kernel_sync_requirementE0EJNS_3hip11IndexGlobalILNS_9named_dimE2ELin1ELi0EEEEEEJNSQ_ILl1ENST_ISV_LSW_0EJNSY_ILSZ_1ELi8ELi0EEEEEEJNSQ_ILl2ENST_ISV_LSW_0EJNSY_ILSZ_0ELi32ELi0EEEEEEJNSP_6LambdaILl0EJEEEEEEEEEEEEEEENS0_9LoopTypesINSO_IJvvvEEES1D_EEEEEEvT0_,@function
_ZN4RAJA8internal22HipKernelLauncherFixedILi256ENS0_8LoopDataIN4camp5tupleIJNS_4SpanINS_9Iterators16numeric_iteratorIllPlEElEESA_SA_EEENS4_IJEEENS3_9resources2v13HipEJZN8rajaperf9polybench17POLYBENCH_HEAT_3D17runHipVariantImplILm256EEEvNSG_9VariantIDEEUllllE2_EEENS0_24HipStatementListExecutorISM_NS3_4listIJNS_9statement3ForILl0ENS_6policy3hip11hip_indexerINS_17iteration_mapping6DirectELNS_23kernel_sync_requirementE0EJNS_3hip11IndexGlobalILNS_9named_dimE2ELin1ELi0EEEEEEJNSQ_ILl1ENST_ISV_LSW_0EJNSY_ILSZ_1ELi8ELi0EEEEEEJNSQ_ILl2ENST_ISV_LSW_0EJNSY_ILSZ_0ELi32ELi0EEEEEEJNSP_6LambdaILl0EJEEEEEEEEEEEEEEENS0_9LoopTypesINSO_IJvvvEEES1D_EEEEEEvT0_: ; @_ZN4RAJA8internal22HipKernelLauncherFixedILi256ENS0_8LoopDataIN4camp5tupleIJNS_4SpanINS_9Iterators16numeric_iteratorIllPlEElEESA_SA_EEENS4_IJEEENS3_9resources2v13HipEJZN8rajaperf9polybench17POLYBENCH_HEAT_3D17runHipVariantImplILm256EEEvNSG_9VariantIDEEUllllE2_EEENS0_24HipStatementListExecutorISM_NS3_4listIJNS_9statement3ForILl0ENS_6policy3hip11hip_indexerINS_17iteration_mapping6DirectELNS_23kernel_sync_requirementE0EJNS_3hip11IndexGlobalILNS_9named_dimE2ELin1ELi0EEEEEEJNSQ_ILl1ENST_ISV_LSW_0EJNSY_ILSZ_1ELi8ELi0EEEEEEJNSQ_ILl2ENST_ISV_LSW_0EJNSY_ILSZ_0ELi32ELi0EEEEEEJNSP_6LambdaILl0EJEEEEEEEEEEEEEEENS0_9LoopTypesINSO_IJvvvEEES1D_EEEEEEvT0_
; %bb.0:
	s_bfe_u32 s2, ttmp6, 0x40010
	s_and_b32 s3, ttmp7, 0xffff
	s_add_co_i32 s2, s2, 1
	s_bfe_u32 s17, ttmp6, 0x4000c
	s_mul_i32 s2, s3, s2
	s_bfe_u32 s16, ttmp6, 0x40004
	s_add_co_i32 s17, s17, 1
	s_bfe_u32 s18, ttmp6, 0x40014
	s_add_co_i32 s16, s16, s2
	s_and_b32 s2, ttmp6, 15
	s_mul_i32 s17, ttmp9, s17
	s_lshr_b32 s19, ttmp7, 16
	s_add_co_i32 s18, s18, 1
	s_clause 0x1
	s_load_b256 s[4:11], s[0:1], 0x0
	s_load_b128 s[12:15], s[0:1], 0x20
	s_add_co_i32 s2, s2, s17
	s_mul_i32 s17, s19, s18
	s_bfe_u32 s18, ttmp6, 0x40008
	s_getreg_b32 s20, hwreg(HW_REG_IB_STS2, 6, 4)
	s_add_co_i32 s18, s18, s17
	s_cmp_eq_u32 s20, 0
	v_bfe_u32 v4, v0, 10, 10
	v_mov_b32_e32 v5, 0
	s_mov_b32 s21, 0
	s_cselect_b32 s3, s3, s16
	s_cselect_b32 s20, s19, s18
	s_cselect_b32 s2, ttmp9, s2
	s_lshl_b32 s16, s3, 3
	s_mov_b32 s17, s21
	s_mov_b32 s3, s21
	v_add_nc_u64_e32 v[2:3], s[16:17], v[4:5]
	v_and_b32_e32 v4, 0x3ff, v0
	s_lshl_b64 s[2:3], s[2:3], 5
	s_wait_kmcnt 0x0
	s_sub_nc_u64 s[6:7], s[6:7], s[4:5]
	s_delay_alu instid0(VALU_DEP_1) | instskip(SKIP_4) | instid1(VALU_DEP_3)
	v_add_nc_u64_e32 v[0:1], s[2:3], v[4:5]
	s_sub_nc_u64 s[2:3], s[10:11], s[8:9]
	s_sub_nc_u64 s[10:11], s[14:15], s[12:13]
	v_cmp_gt_i64_e32 vcc_lo, s[2:3], v[2:3]
	v_cmp_gt_i64_e64 s3, s[6:7], s[20:21]
	v_cmp_gt_i64_e64 s2, s[10:11], v[0:1]
	s_and_b32 s2, vcc_lo, s2
	s_delay_alu instid0(SALU_CYCLE_1) | instskip(NEXT) | instid1(SALU_CYCLE_1)
	s_and_b32 s2, s2, s3
	s_and_saveexec_b32 s3, s2
	s_cbranch_execz .LBB5_2
; %bb.1:
	s_clause 0x1
	s_load_b128 s[16:19], s[0:1], 0xd0
	s_load_b64 s[2:3], s[0:1], 0xb0
	v_add_nc_u64_e32 v[4:5], s[8:9], v[2:3]
	v_add_nc_u64_e32 v[0:1], s[12:13], v[0:1]
	s_add_nc_u64 s[8:9], s[4:5], s[20:21]
	s_delay_alu instid0(VALU_DEP_1) | instskip(SKIP_1) | instid1(VALU_DEP_3)
	v_lshlrev_b64_e32 v[10:11], 3, v[0:1]
	s_wait_kmcnt 0x0
	v_mul_u64_e32 v[2:3], s[18:19], v[4:5]
	s_mul_u64 s[4:5], s[16:17], s[8:9]
	s_lshl_b64 s[10:11], s[18:19], 1
	s_lshl_b64 s[6:7], s[4:5], 3
	s_delay_alu instid0(VALU_DEP_1) | instskip(SKIP_1) | instid1(VALU_DEP_2)
	v_lshl_add_u64 v[6:7], v[2:3], 3, s[2:3]
	v_add_nc_u64_e32 v[14:15], s[18:19], v[2:3]
	v_lshl_add_u64 v[8:9], s[18:19], 3, v[6:7]
	v_add_nc_u64_e32 v[0:1], s[6:7], v[6:7]
	s_delay_alu instid0(VALU_DEP_2) | instskip(NEXT) | instid1(VALU_DEP_2)
	v_add_nc_u64_e32 v[8:9], s[6:7], v[8:9]
	v_add_nc_u64_e32 v[12:13], v[0:1], v[10:11]
	s_delay_alu instid0(VALU_DEP_2)
	v_add_nc_u64_e32 v[8:9], v[8:9], v[10:11]
	s_clause 0x1
	global_load_b128 v[0:3], v[12:13], off offset:-8
	global_load_b64 v[16:17], v[8:9], off
	s_wait_xcnt 0x0
	v_sub_nc_u64_e64 v[8:9], v[14:15], s[10:11]
	s_delay_alu instid0(VALU_DEP_1) | instskip(SKIP_1) | instid1(SALU_CYCLE_1)
	v_lshl_add_u64 v[8:9], v[8:9], 3, s[2:3]
	s_add_nc_u64 s[2:3], s[8:9], 1
	s_mul_u64 s[2:3], s[16:17], s[2:3]
	s_delay_alu instid0(VALU_DEP_1)
	v_add_nc_u64_e32 v[8:9], s[6:7], v[8:9]
	v_lshl_add_u64 v[14:15], s[2:3], 3, v[6:7]
	s_sub_nc_u64 s[2:3], s[4:5], s[16:17]
	s_load_b128 s[4:7], s[0:1], 0x68
	v_lshl_add_u64 v[6:7], s[2:3], 3, v[6:7]
	s_wait_xcnt 0x0
	s_load_b64 s[0:1], s[0:1], 0x48
	v_add_nc_u64_e32 v[14:15], v[14:15], v[10:11]
	v_add_nc_u64_e32 v[8:9], v[8:9], v[10:11]
	s_clause 0x1
	global_load_b64 v[18:19], v[14:15], off
	global_load_b64 v[20:21], v[8:9], off
	v_add_nc_u64_e32 v[6:7], v[6:7], v[10:11]
	s_clause 0x1
	global_load_b64 v[8:9], v[6:7], off
	global_load_b64 v[14:15], v[12:13], off offset:8
	s_wait_loadcnt 0x4
	v_fmac_f64_e32 v[16:17], -2.0, v[2:3]
	s_wait_loadcnt 0x3
	v_fmac_f64_e32 v[18:19], -2.0, v[2:3]
	s_wait_loadcnt 0x2
	s_wait_xcnt 0x1
	s_delay_alu instid0(VALU_DEP_2) | instskip(SKIP_2) | instid1(VALU_DEP_3)
	v_add_f64_e32 v[6:7], v[16:17], v[20:21]
	s_wait_loadcnt 0x0
	v_fmac_f64_e32 v[14:15], -2.0, v[2:3]
	v_add_f64_e32 v[8:9], v[8:9], v[18:19]
	s_delay_alu instid0(VALU_DEP_3) | instskip(NEXT) | instid1(VALU_DEP_3)
	v_ldexp_f64 v[6:7], v[6:7], -3
	v_add_f64_e32 v[0:1], v[14:15], v[0:1]
	s_delay_alu instid0(VALU_DEP_2) | instskip(NEXT) | instid1(VALU_DEP_1)
	v_fmac_f64_e32 v[6:7], 0x3fc00000, v[8:9]
	v_fmac_f64_e32 v[6:7], 0x3fc00000, v[0:1]
	s_wait_kmcnt 0x0
	v_mul_u64_e32 v[0:1], s[6:7], v[4:5]
	s_delay_alu instid0(VALU_DEP_2) | instskip(NEXT) | instid1(VALU_DEP_2)
	v_add_f64_e32 v[2:3], v[2:3], v[6:7]
	v_lshl_add_u64 v[0:1], v[0:1], 3, s[0:1]
	s_mul_u64 s[0:1], s[4:5], s[8:9]
	s_delay_alu instid0(VALU_DEP_1) | instid1(SALU_CYCLE_1)
	v_lshl_add_u64 v[0:1], s[0:1], 3, v[0:1]
	s_delay_alu instid0(VALU_DEP_1)
	v_add_nc_u64_e32 v[0:1], v[0:1], v[10:11]
	global_store_b64 v[0:1], v[2:3], off
.LBB5_2:
	s_endpgm
	.section	.rodata,"a",@progbits
	.p2align	6, 0x0
	.amdhsa_kernel _ZN4RAJA8internal22HipKernelLauncherFixedILi256ENS0_8LoopDataIN4camp5tupleIJNS_4SpanINS_9Iterators16numeric_iteratorIllPlEElEESA_SA_EEENS4_IJEEENS3_9resources2v13HipEJZN8rajaperf9polybench17POLYBENCH_HEAT_3D17runHipVariantImplILm256EEEvNSG_9VariantIDEEUllllE2_EEENS0_24HipStatementListExecutorISM_NS3_4listIJNS_9statement3ForILl0ENS_6policy3hip11hip_indexerINS_17iteration_mapping6DirectELNS_23kernel_sync_requirementE0EJNS_3hip11IndexGlobalILNS_9named_dimE2ELin1ELi0EEEEEEJNSQ_ILl1ENST_ISV_LSW_0EJNSY_ILSZ_1ELi8ELi0EEEEEEJNSQ_ILl2ENST_ISV_LSW_0EJNSY_ILSZ_0ELi32ELi0EEEEEEJNSP_6LambdaILl0EJEEEEEEEEEEEEEEENS0_9LoopTypesINSO_IJvvvEEES1D_EEEEEEvT0_
		.amdhsa_group_segment_fixed_size 0
		.amdhsa_private_segment_fixed_size 0
		.amdhsa_kernarg_size 320
		.amdhsa_user_sgpr_count 2
		.amdhsa_user_sgpr_dispatch_ptr 0
		.amdhsa_user_sgpr_queue_ptr 0
		.amdhsa_user_sgpr_kernarg_segment_ptr 1
		.amdhsa_user_sgpr_dispatch_id 0
		.amdhsa_user_sgpr_kernarg_preload_length 0
		.amdhsa_user_sgpr_kernarg_preload_offset 0
		.amdhsa_user_sgpr_private_segment_size 0
		.amdhsa_wavefront_size32 1
		.amdhsa_uses_dynamic_stack 0
		.amdhsa_enable_private_segment 0
		.amdhsa_system_sgpr_workgroup_id_x 1
		.amdhsa_system_sgpr_workgroup_id_y 1
		.amdhsa_system_sgpr_workgroup_id_z 1
		.amdhsa_system_sgpr_workgroup_info 0
		.amdhsa_system_vgpr_workitem_id 1
		.amdhsa_next_free_vgpr 22
		.amdhsa_next_free_sgpr 22
		.amdhsa_named_barrier_count 0
		.amdhsa_reserve_vcc 1
		.amdhsa_float_round_mode_32 0
		.amdhsa_float_round_mode_16_64 0
		.amdhsa_float_denorm_mode_32 3
		.amdhsa_float_denorm_mode_16_64 3
		.amdhsa_fp16_overflow 0
		.amdhsa_memory_ordered 1
		.amdhsa_forward_progress 1
		.amdhsa_inst_pref_size 6
		.amdhsa_round_robin_scheduling 0
		.amdhsa_exception_fp_ieee_invalid_op 0
		.amdhsa_exception_fp_denorm_src 0
		.amdhsa_exception_fp_ieee_div_zero 0
		.amdhsa_exception_fp_ieee_overflow 0
		.amdhsa_exception_fp_ieee_underflow 0
		.amdhsa_exception_fp_ieee_inexact 0
		.amdhsa_exception_int_div_zero 0
	.end_amdhsa_kernel
	.section	.text._ZN4RAJA8internal22HipKernelLauncherFixedILi256ENS0_8LoopDataIN4camp5tupleIJNS_4SpanINS_9Iterators16numeric_iteratorIllPlEElEESA_SA_EEENS4_IJEEENS3_9resources2v13HipEJZN8rajaperf9polybench17POLYBENCH_HEAT_3D17runHipVariantImplILm256EEEvNSG_9VariantIDEEUllllE2_EEENS0_24HipStatementListExecutorISM_NS3_4listIJNS_9statement3ForILl0ENS_6policy3hip11hip_indexerINS_17iteration_mapping6DirectELNS_23kernel_sync_requirementE0EJNS_3hip11IndexGlobalILNS_9named_dimE2ELin1ELi0EEEEEEJNSQ_ILl1ENST_ISV_LSW_0EJNSY_ILSZ_1ELi8ELi0EEEEEEJNSQ_ILl2ENST_ISV_LSW_0EJNSY_ILSZ_0ELi32ELi0EEEEEEJNSP_6LambdaILl0EJEEEEEEEEEEEEEEENS0_9LoopTypesINSO_IJvvvEEES1D_EEEEEEvT0_,"axG",@progbits,_ZN4RAJA8internal22HipKernelLauncherFixedILi256ENS0_8LoopDataIN4camp5tupleIJNS_4SpanINS_9Iterators16numeric_iteratorIllPlEElEESA_SA_EEENS4_IJEEENS3_9resources2v13HipEJZN8rajaperf9polybench17POLYBENCH_HEAT_3D17runHipVariantImplILm256EEEvNSG_9VariantIDEEUllllE2_EEENS0_24HipStatementListExecutorISM_NS3_4listIJNS_9statement3ForILl0ENS_6policy3hip11hip_indexerINS_17iteration_mapping6DirectELNS_23kernel_sync_requirementE0EJNS_3hip11IndexGlobalILNS_9named_dimE2ELin1ELi0EEEEEEJNSQ_ILl1ENST_ISV_LSW_0EJNSY_ILSZ_1ELi8ELi0EEEEEEJNSQ_ILl2ENST_ISV_LSW_0EJNSY_ILSZ_0ELi32ELi0EEEEEEJNSP_6LambdaILl0EJEEEEEEEEEEEEEEENS0_9LoopTypesINSO_IJvvvEEES1D_EEEEEEvT0_,comdat
.Lfunc_end5:
	.size	_ZN4RAJA8internal22HipKernelLauncherFixedILi256ENS0_8LoopDataIN4camp5tupleIJNS_4SpanINS_9Iterators16numeric_iteratorIllPlEElEESA_SA_EEENS4_IJEEENS3_9resources2v13HipEJZN8rajaperf9polybench17POLYBENCH_HEAT_3D17runHipVariantImplILm256EEEvNSG_9VariantIDEEUllllE2_EEENS0_24HipStatementListExecutorISM_NS3_4listIJNS_9statement3ForILl0ENS_6policy3hip11hip_indexerINS_17iteration_mapping6DirectELNS_23kernel_sync_requirementE0EJNS_3hip11IndexGlobalILNS_9named_dimE2ELin1ELi0EEEEEEJNSQ_ILl1ENST_ISV_LSW_0EJNSY_ILSZ_1ELi8ELi0EEEEEEJNSQ_ILl2ENST_ISV_LSW_0EJNSY_ILSZ_0ELi32ELi0EEEEEEJNSP_6LambdaILl0EJEEEEEEEEEEEEEEENS0_9LoopTypesINSO_IJvvvEEES1D_EEEEEEvT0_, .Lfunc_end5-_ZN4RAJA8internal22HipKernelLauncherFixedILi256ENS0_8LoopDataIN4camp5tupleIJNS_4SpanINS_9Iterators16numeric_iteratorIllPlEElEESA_SA_EEENS4_IJEEENS3_9resources2v13HipEJZN8rajaperf9polybench17POLYBENCH_HEAT_3D17runHipVariantImplILm256EEEvNSG_9VariantIDEEUllllE2_EEENS0_24HipStatementListExecutorISM_NS3_4listIJNS_9statement3ForILl0ENS_6policy3hip11hip_indexerINS_17iteration_mapping6DirectELNS_23kernel_sync_requirementE0EJNS_3hip11IndexGlobalILNS_9named_dimE2ELin1ELi0EEEEEEJNSQ_ILl1ENST_ISV_LSW_0EJNSY_ILSZ_1ELi8ELi0EEEEEEJNSQ_ILl2ENST_ISV_LSW_0EJNSY_ILSZ_0ELi32ELi0EEEEEEJNSP_6LambdaILl0EJEEEEEEEEEEEEEEENS0_9LoopTypesINSO_IJvvvEEES1D_EEEEEEvT0_
                                        ; -- End function
	.set _ZN4RAJA8internal22HipKernelLauncherFixedILi256ENS0_8LoopDataIN4camp5tupleIJNS_4SpanINS_9Iterators16numeric_iteratorIllPlEElEESA_SA_EEENS4_IJEEENS3_9resources2v13HipEJZN8rajaperf9polybench17POLYBENCH_HEAT_3D17runHipVariantImplILm256EEEvNSG_9VariantIDEEUllllE2_EEENS0_24HipStatementListExecutorISM_NS3_4listIJNS_9statement3ForILl0ENS_6policy3hip11hip_indexerINS_17iteration_mapping6DirectELNS_23kernel_sync_requirementE0EJNS_3hip11IndexGlobalILNS_9named_dimE2ELin1ELi0EEEEEEJNSQ_ILl1ENST_ISV_LSW_0EJNSY_ILSZ_1ELi8ELi0EEEEEEJNSQ_ILl2ENST_ISV_LSW_0EJNSY_ILSZ_0ELi32ELi0EEEEEEJNSP_6LambdaILl0EJEEEEEEEEEEEEEEENS0_9LoopTypesINSO_IJvvvEEES1D_EEEEEEvT0_.num_vgpr, 22
	.set _ZN4RAJA8internal22HipKernelLauncherFixedILi256ENS0_8LoopDataIN4camp5tupleIJNS_4SpanINS_9Iterators16numeric_iteratorIllPlEElEESA_SA_EEENS4_IJEEENS3_9resources2v13HipEJZN8rajaperf9polybench17POLYBENCH_HEAT_3D17runHipVariantImplILm256EEEvNSG_9VariantIDEEUllllE2_EEENS0_24HipStatementListExecutorISM_NS3_4listIJNS_9statement3ForILl0ENS_6policy3hip11hip_indexerINS_17iteration_mapping6DirectELNS_23kernel_sync_requirementE0EJNS_3hip11IndexGlobalILNS_9named_dimE2ELin1ELi0EEEEEEJNSQ_ILl1ENST_ISV_LSW_0EJNSY_ILSZ_1ELi8ELi0EEEEEEJNSQ_ILl2ENST_ISV_LSW_0EJNSY_ILSZ_0ELi32ELi0EEEEEEJNSP_6LambdaILl0EJEEEEEEEEEEEEEEENS0_9LoopTypesINSO_IJvvvEEES1D_EEEEEEvT0_.num_agpr, 0
	.set _ZN4RAJA8internal22HipKernelLauncherFixedILi256ENS0_8LoopDataIN4camp5tupleIJNS_4SpanINS_9Iterators16numeric_iteratorIllPlEElEESA_SA_EEENS4_IJEEENS3_9resources2v13HipEJZN8rajaperf9polybench17POLYBENCH_HEAT_3D17runHipVariantImplILm256EEEvNSG_9VariantIDEEUllllE2_EEENS0_24HipStatementListExecutorISM_NS3_4listIJNS_9statement3ForILl0ENS_6policy3hip11hip_indexerINS_17iteration_mapping6DirectELNS_23kernel_sync_requirementE0EJNS_3hip11IndexGlobalILNS_9named_dimE2ELin1ELi0EEEEEEJNSQ_ILl1ENST_ISV_LSW_0EJNSY_ILSZ_1ELi8ELi0EEEEEEJNSQ_ILl2ENST_ISV_LSW_0EJNSY_ILSZ_0ELi32ELi0EEEEEEJNSP_6LambdaILl0EJEEEEEEEEEEEEEEENS0_9LoopTypesINSO_IJvvvEEES1D_EEEEEEvT0_.numbered_sgpr, 22
	.set _ZN4RAJA8internal22HipKernelLauncherFixedILi256ENS0_8LoopDataIN4camp5tupleIJNS_4SpanINS_9Iterators16numeric_iteratorIllPlEElEESA_SA_EEENS4_IJEEENS3_9resources2v13HipEJZN8rajaperf9polybench17POLYBENCH_HEAT_3D17runHipVariantImplILm256EEEvNSG_9VariantIDEEUllllE2_EEENS0_24HipStatementListExecutorISM_NS3_4listIJNS_9statement3ForILl0ENS_6policy3hip11hip_indexerINS_17iteration_mapping6DirectELNS_23kernel_sync_requirementE0EJNS_3hip11IndexGlobalILNS_9named_dimE2ELin1ELi0EEEEEEJNSQ_ILl1ENST_ISV_LSW_0EJNSY_ILSZ_1ELi8ELi0EEEEEEJNSQ_ILl2ENST_ISV_LSW_0EJNSY_ILSZ_0ELi32ELi0EEEEEEJNSP_6LambdaILl0EJEEEEEEEEEEEEEEENS0_9LoopTypesINSO_IJvvvEEES1D_EEEEEEvT0_.num_named_barrier, 0
	.set _ZN4RAJA8internal22HipKernelLauncherFixedILi256ENS0_8LoopDataIN4camp5tupleIJNS_4SpanINS_9Iterators16numeric_iteratorIllPlEElEESA_SA_EEENS4_IJEEENS3_9resources2v13HipEJZN8rajaperf9polybench17POLYBENCH_HEAT_3D17runHipVariantImplILm256EEEvNSG_9VariantIDEEUllllE2_EEENS0_24HipStatementListExecutorISM_NS3_4listIJNS_9statement3ForILl0ENS_6policy3hip11hip_indexerINS_17iteration_mapping6DirectELNS_23kernel_sync_requirementE0EJNS_3hip11IndexGlobalILNS_9named_dimE2ELin1ELi0EEEEEEJNSQ_ILl1ENST_ISV_LSW_0EJNSY_ILSZ_1ELi8ELi0EEEEEEJNSQ_ILl2ENST_ISV_LSW_0EJNSY_ILSZ_0ELi32ELi0EEEEEEJNSP_6LambdaILl0EJEEEEEEEEEEEEEEENS0_9LoopTypesINSO_IJvvvEEES1D_EEEEEEvT0_.private_seg_size, 0
	.set _ZN4RAJA8internal22HipKernelLauncherFixedILi256ENS0_8LoopDataIN4camp5tupleIJNS_4SpanINS_9Iterators16numeric_iteratorIllPlEElEESA_SA_EEENS4_IJEEENS3_9resources2v13HipEJZN8rajaperf9polybench17POLYBENCH_HEAT_3D17runHipVariantImplILm256EEEvNSG_9VariantIDEEUllllE2_EEENS0_24HipStatementListExecutorISM_NS3_4listIJNS_9statement3ForILl0ENS_6policy3hip11hip_indexerINS_17iteration_mapping6DirectELNS_23kernel_sync_requirementE0EJNS_3hip11IndexGlobalILNS_9named_dimE2ELin1ELi0EEEEEEJNSQ_ILl1ENST_ISV_LSW_0EJNSY_ILSZ_1ELi8ELi0EEEEEEJNSQ_ILl2ENST_ISV_LSW_0EJNSY_ILSZ_0ELi32ELi0EEEEEEJNSP_6LambdaILl0EJEEEEEEEEEEEEEEENS0_9LoopTypesINSO_IJvvvEEES1D_EEEEEEvT0_.uses_vcc, 1
	.set _ZN4RAJA8internal22HipKernelLauncherFixedILi256ENS0_8LoopDataIN4camp5tupleIJNS_4SpanINS_9Iterators16numeric_iteratorIllPlEElEESA_SA_EEENS4_IJEEENS3_9resources2v13HipEJZN8rajaperf9polybench17POLYBENCH_HEAT_3D17runHipVariantImplILm256EEEvNSG_9VariantIDEEUllllE2_EEENS0_24HipStatementListExecutorISM_NS3_4listIJNS_9statement3ForILl0ENS_6policy3hip11hip_indexerINS_17iteration_mapping6DirectELNS_23kernel_sync_requirementE0EJNS_3hip11IndexGlobalILNS_9named_dimE2ELin1ELi0EEEEEEJNSQ_ILl1ENST_ISV_LSW_0EJNSY_ILSZ_1ELi8ELi0EEEEEEJNSQ_ILl2ENST_ISV_LSW_0EJNSY_ILSZ_0ELi32ELi0EEEEEEJNSP_6LambdaILl0EJEEEEEEEEEEEEEEENS0_9LoopTypesINSO_IJvvvEEES1D_EEEEEEvT0_.uses_flat_scratch, 0
	.set _ZN4RAJA8internal22HipKernelLauncherFixedILi256ENS0_8LoopDataIN4camp5tupleIJNS_4SpanINS_9Iterators16numeric_iteratorIllPlEElEESA_SA_EEENS4_IJEEENS3_9resources2v13HipEJZN8rajaperf9polybench17POLYBENCH_HEAT_3D17runHipVariantImplILm256EEEvNSG_9VariantIDEEUllllE2_EEENS0_24HipStatementListExecutorISM_NS3_4listIJNS_9statement3ForILl0ENS_6policy3hip11hip_indexerINS_17iteration_mapping6DirectELNS_23kernel_sync_requirementE0EJNS_3hip11IndexGlobalILNS_9named_dimE2ELin1ELi0EEEEEEJNSQ_ILl1ENST_ISV_LSW_0EJNSY_ILSZ_1ELi8ELi0EEEEEEJNSQ_ILl2ENST_ISV_LSW_0EJNSY_ILSZ_0ELi32ELi0EEEEEEJNSP_6LambdaILl0EJEEEEEEEEEEEEEEENS0_9LoopTypesINSO_IJvvvEEES1D_EEEEEEvT0_.has_dyn_sized_stack, 0
	.set _ZN4RAJA8internal22HipKernelLauncherFixedILi256ENS0_8LoopDataIN4camp5tupleIJNS_4SpanINS_9Iterators16numeric_iteratorIllPlEElEESA_SA_EEENS4_IJEEENS3_9resources2v13HipEJZN8rajaperf9polybench17POLYBENCH_HEAT_3D17runHipVariantImplILm256EEEvNSG_9VariantIDEEUllllE2_EEENS0_24HipStatementListExecutorISM_NS3_4listIJNS_9statement3ForILl0ENS_6policy3hip11hip_indexerINS_17iteration_mapping6DirectELNS_23kernel_sync_requirementE0EJNS_3hip11IndexGlobalILNS_9named_dimE2ELin1ELi0EEEEEEJNSQ_ILl1ENST_ISV_LSW_0EJNSY_ILSZ_1ELi8ELi0EEEEEEJNSQ_ILl2ENST_ISV_LSW_0EJNSY_ILSZ_0ELi32ELi0EEEEEEJNSP_6LambdaILl0EJEEEEEEEEEEEEEEENS0_9LoopTypesINSO_IJvvvEEES1D_EEEEEEvT0_.has_recursion, 0
	.set _ZN4RAJA8internal22HipKernelLauncherFixedILi256ENS0_8LoopDataIN4camp5tupleIJNS_4SpanINS_9Iterators16numeric_iteratorIllPlEElEESA_SA_EEENS4_IJEEENS3_9resources2v13HipEJZN8rajaperf9polybench17POLYBENCH_HEAT_3D17runHipVariantImplILm256EEEvNSG_9VariantIDEEUllllE2_EEENS0_24HipStatementListExecutorISM_NS3_4listIJNS_9statement3ForILl0ENS_6policy3hip11hip_indexerINS_17iteration_mapping6DirectELNS_23kernel_sync_requirementE0EJNS_3hip11IndexGlobalILNS_9named_dimE2ELin1ELi0EEEEEEJNSQ_ILl1ENST_ISV_LSW_0EJNSY_ILSZ_1ELi8ELi0EEEEEEJNSQ_ILl2ENST_ISV_LSW_0EJNSY_ILSZ_0ELi32ELi0EEEEEEJNSP_6LambdaILl0EJEEEEEEEEEEEEEEENS0_9LoopTypesINSO_IJvvvEEES1D_EEEEEEvT0_.has_indirect_call, 0
	.section	.AMDGPU.csdata,"",@progbits
; Kernel info:
; codeLenInByte = 668
; TotalNumSgprs: 24
; NumVgprs: 22
; ScratchSize: 0
; MemoryBound: 0
; FloatMode: 240
; IeeeMode: 1
; LDSByteSize: 0 bytes/workgroup (compile time only)
; SGPRBlocks: 0
; VGPRBlocks: 1
; NumSGPRsForWavesPerEU: 24
; NumVGPRsForWavesPerEU: 22
; NamedBarCnt: 0
; Occupancy: 16
; WaveLimiterHint : 1
; COMPUTE_PGM_RSRC2:SCRATCH_EN: 0
; COMPUTE_PGM_RSRC2:USER_SGPR: 2
; COMPUTE_PGM_RSRC2:TRAP_HANDLER: 0
; COMPUTE_PGM_RSRC2:TGID_X_EN: 1
; COMPUTE_PGM_RSRC2:TGID_Y_EN: 1
; COMPUTE_PGM_RSRC2:TGID_Z_EN: 1
; COMPUTE_PGM_RSRC2:TIDIG_COMP_CNT: 1
	.section	.AMDGPU.gpr_maximums,"",@progbits
	.set amdgpu.max_num_vgpr, 0
	.set amdgpu.max_num_agpr, 0
	.set amdgpu.max_num_sgpr, 0
	.section	.AMDGPU.csdata,"",@progbits
	.type	__hip_cuid_c4cad05acdcddc49,@object ; @__hip_cuid_c4cad05acdcddc49
	.section	.bss,"aw",@nobits
	.globl	__hip_cuid_c4cad05acdcddc49
__hip_cuid_c4cad05acdcddc49:
	.byte	0                               ; 0x0
	.size	__hip_cuid_c4cad05acdcddc49, 1

	.ident	"AMD clang version 22.0.0git (https://github.com/RadeonOpenCompute/llvm-project roc-7.2.4 26084 f58b06dce1f9c15707c5f808fd002e18c2accf7e)"
	.section	".note.GNU-stack","",@progbits
	.addrsig
	.addrsig_sym __hip_cuid_c4cad05acdcddc49
	.amdgpu_metadata
---
amdhsa.kernels:
  - .args:
      - .address_space:  global
        .offset:         0
        .size:           8
        .value_kind:     global_buffer
      - .address_space:  global
        .offset:         8
        .size:           8
        .value_kind:     global_buffer
      - .offset:         16
        .size:           8
        .value_kind:     by_value
    .group_segment_fixed_size: 0
    .kernarg_segment_align: 8
    .kernarg_segment_size: 24
    .language:       OpenCL C
    .language_version:
      - 2
      - 0
    .max_flat_workgroup_size: 256
    .name:           _ZN8rajaperf9polybench14poly_heat_3D_1ILm32ELm8ELm1EEEvPdS2_l
    .private_segment_fixed_size: 0
    .sgpr_count:     14
    .sgpr_spill_count: 0
    .symbol:         _ZN8rajaperf9polybench14poly_heat_3D_1ILm32ELm8ELm1EEEvPdS2_l.kd
    .uniform_work_group_size: 1
    .uses_dynamic_stack: false
    .vgpr_count:     24
    .vgpr_spill_count: 0
    .wavefront_size: 32
  - .args:
      - .address_space:  global
        .offset:         0
        .size:           8
        .value_kind:     global_buffer
      - .address_space:  global
        .offset:         8
        .size:           8
        .value_kind:     global_buffer
      - .offset:         16
        .size:           8
        .value_kind:     by_value
    .group_segment_fixed_size: 0
    .kernarg_segment_align: 8
    .kernarg_segment_size: 24
    .language:       OpenCL C
    .language_version:
      - 2
      - 0
    .max_flat_workgroup_size: 256
    .name:           _ZN8rajaperf9polybench14poly_heat_3D_2ILm32ELm8ELm1EEEvPdS2_l
    .private_segment_fixed_size: 0
    .sgpr_count:     14
    .sgpr_spill_count: 0
    .symbol:         _ZN8rajaperf9polybench14poly_heat_3D_2ILm32ELm8ELm1EEEvPdS2_l.kd
    .uniform_work_group_size: 1
    .uses_dynamic_stack: false
    .vgpr_count:     24
    .vgpr_spill_count: 0
    .wavefront_size: 32
  - .args:
      - .offset:         0
        .size:           8
        .value_kind:     by_value
      - .offset:         8
        .size:           24
        .value_kind:     by_value
    .group_segment_fixed_size: 0
    .kernarg_segment_align: 8
    .kernarg_segment_size: 32
    .language:       OpenCL C
    .language_version:
      - 2
      - 0
    .max_flat_workgroup_size: 256
    .name:           _ZN8rajaperf9polybench16poly_heat_3D_lamILm32ELm8ELm1EZNS0_17POLYBENCH_HEAT_3D17runHipVariantImplILm256EEEvNS_9VariantIDEEUllllE_EEvlT2_
    .private_segment_fixed_size: 0
    .sgpr_count:     14
    .sgpr_spill_count: 0
    .symbol:         _ZN8rajaperf9polybench16poly_heat_3D_lamILm32ELm8ELm1EZNS0_17POLYBENCH_HEAT_3D17runHipVariantImplILm256EEEvNS_9VariantIDEEUllllE_EEvlT2_.kd
    .uniform_work_group_size: 1
    .uses_dynamic_stack: false
    .vgpr_count:     24
    .vgpr_spill_count: 0
    .wavefront_size: 32
  - .args:
      - .offset:         0
        .size:           8
        .value_kind:     by_value
      - .offset:         8
        .size:           24
        .value_kind:     by_value
    .group_segment_fixed_size: 0
    .kernarg_segment_align: 8
    .kernarg_segment_size: 32
    .language:       OpenCL C
    .language_version:
      - 2
      - 0
    .max_flat_workgroup_size: 256
    .name:           _ZN8rajaperf9polybench16poly_heat_3D_lamILm32ELm8ELm1EZNS0_17POLYBENCH_HEAT_3D17runHipVariantImplILm256EEEvNS_9VariantIDEEUllllE0_EEvlT2_
    .private_segment_fixed_size: 0
    .sgpr_count:     14
    .sgpr_spill_count: 0
    .symbol:         _ZN8rajaperf9polybench16poly_heat_3D_lamILm32ELm8ELm1EZNS0_17POLYBENCH_HEAT_3D17runHipVariantImplILm256EEEvNS_9VariantIDEEUllllE0_EEvlT2_.kd
    .uniform_work_group_size: 1
    .uses_dynamic_stack: false
    .vgpr_count:     24
    .vgpr_spill_count: 0
    .wavefront_size: 32
  - .args:
      - .offset:         0
        .size:           320
        .value_kind:     by_value
    .group_segment_fixed_size: 0
    .kernarg_segment_align: 8
    .kernarg_segment_size: 320
    .language:       OpenCL C
    .language_version:
      - 2
      - 0
    .max_flat_workgroup_size: 256
    .name:           _ZN4RAJA8internal22HipKernelLauncherFixedILi256ENS0_8LoopDataIN4camp5tupleIJNS_4SpanINS_9Iterators16numeric_iteratorIllPlEElEESA_SA_EEENS4_IJEEENS3_9resources2v13HipEJZN8rajaperf9polybench17POLYBENCH_HEAT_3D17runHipVariantImplILm256EEEvNSG_9VariantIDEEUllllE1_EEENS0_24HipStatementListExecutorISM_NS3_4listIJNS_9statement3ForILl0ENS_6policy3hip11hip_indexerINS_17iteration_mapping6DirectELNS_23kernel_sync_requirementE0EJNS_3hip11IndexGlobalILNS_9named_dimE2ELin1ELi0EEEEEEJNSQ_ILl1ENST_ISV_LSW_0EJNSY_ILSZ_1ELi8ELi0EEEEEEJNSQ_ILl2ENST_ISV_LSW_0EJNSY_ILSZ_0ELi32ELi0EEEEEEJNSP_6LambdaILl0EJEEEEEEEEEEEEEEENS0_9LoopTypesINSO_IJvvvEEES1D_EEEEEEvT0_
    .private_segment_fixed_size: 0
    .sgpr_count:     24
    .sgpr_spill_count: 0
    .symbol:         _ZN4RAJA8internal22HipKernelLauncherFixedILi256ENS0_8LoopDataIN4camp5tupleIJNS_4SpanINS_9Iterators16numeric_iteratorIllPlEElEESA_SA_EEENS4_IJEEENS3_9resources2v13HipEJZN8rajaperf9polybench17POLYBENCH_HEAT_3D17runHipVariantImplILm256EEEvNSG_9VariantIDEEUllllE1_EEENS0_24HipStatementListExecutorISM_NS3_4listIJNS_9statement3ForILl0ENS_6policy3hip11hip_indexerINS_17iteration_mapping6DirectELNS_23kernel_sync_requirementE0EJNS_3hip11IndexGlobalILNS_9named_dimE2ELin1ELi0EEEEEEJNSQ_ILl1ENST_ISV_LSW_0EJNSY_ILSZ_1ELi8ELi0EEEEEEJNSQ_ILl2ENST_ISV_LSW_0EJNSY_ILSZ_0ELi32ELi0EEEEEEJNSP_6LambdaILl0EJEEEEEEEEEEEEEEENS0_9LoopTypesINSO_IJvvvEEES1D_EEEEEEvT0_.kd
    .uniform_work_group_size: 1
    .uses_dynamic_stack: false
    .vgpr_count:     22
    .vgpr_spill_count: 0
    .wavefront_size: 32
  - .args:
      - .offset:         0
        .size:           320
        .value_kind:     by_value
    .group_segment_fixed_size: 0
    .kernarg_segment_align: 8
    .kernarg_segment_size: 320
    .language:       OpenCL C
    .language_version:
      - 2
      - 0
    .max_flat_workgroup_size: 256
    .name:           _ZN4RAJA8internal22HipKernelLauncherFixedILi256ENS0_8LoopDataIN4camp5tupleIJNS_4SpanINS_9Iterators16numeric_iteratorIllPlEElEESA_SA_EEENS4_IJEEENS3_9resources2v13HipEJZN8rajaperf9polybench17POLYBENCH_HEAT_3D17runHipVariantImplILm256EEEvNSG_9VariantIDEEUllllE2_EEENS0_24HipStatementListExecutorISM_NS3_4listIJNS_9statement3ForILl0ENS_6policy3hip11hip_indexerINS_17iteration_mapping6DirectELNS_23kernel_sync_requirementE0EJNS_3hip11IndexGlobalILNS_9named_dimE2ELin1ELi0EEEEEEJNSQ_ILl1ENST_ISV_LSW_0EJNSY_ILSZ_1ELi8ELi0EEEEEEJNSQ_ILl2ENST_ISV_LSW_0EJNSY_ILSZ_0ELi32ELi0EEEEEEJNSP_6LambdaILl0EJEEEEEEEEEEEEEEENS0_9LoopTypesINSO_IJvvvEEES1D_EEEEEEvT0_
    .private_segment_fixed_size: 0
    .sgpr_count:     24
    .sgpr_spill_count: 0
    .symbol:         _ZN4RAJA8internal22HipKernelLauncherFixedILi256ENS0_8LoopDataIN4camp5tupleIJNS_4SpanINS_9Iterators16numeric_iteratorIllPlEElEESA_SA_EEENS4_IJEEENS3_9resources2v13HipEJZN8rajaperf9polybench17POLYBENCH_HEAT_3D17runHipVariantImplILm256EEEvNSG_9VariantIDEEUllllE2_EEENS0_24HipStatementListExecutorISM_NS3_4listIJNS_9statement3ForILl0ENS_6policy3hip11hip_indexerINS_17iteration_mapping6DirectELNS_23kernel_sync_requirementE0EJNS_3hip11IndexGlobalILNS_9named_dimE2ELin1ELi0EEEEEEJNSQ_ILl1ENST_ISV_LSW_0EJNSY_ILSZ_1ELi8ELi0EEEEEEJNSQ_ILl2ENST_ISV_LSW_0EJNSY_ILSZ_0ELi32ELi0EEEEEEJNSP_6LambdaILl0EJEEEEEEEEEEEEEEENS0_9LoopTypesINSO_IJvvvEEES1D_EEEEEEvT0_.kd
    .uniform_work_group_size: 1
    .uses_dynamic_stack: false
    .vgpr_count:     22
    .vgpr_spill_count: 0
    .wavefront_size: 32
amdhsa.target:   amdgcn-amd-amdhsa--gfx1250
amdhsa.version:
  - 1
  - 2
...

	.end_amdgpu_metadata
